;; amdgpu-corpus repo=ROCm/rocFFT kind=compiled arch=gfx906 opt=O3
	.text
	.amdgcn_target "amdgcn-amd-amdhsa--gfx906"
	.amdhsa_code_object_version 6
	.protected	bluestein_single_back_len1040_dim1_half_op_CI_CI ; -- Begin function bluestein_single_back_len1040_dim1_half_op_CI_CI
	.globl	bluestein_single_back_len1040_dim1_half_op_CI_CI
	.p2align	8
	.type	bluestein_single_back_len1040_dim1_half_op_CI_CI,@function
bluestein_single_back_len1040_dim1_half_op_CI_CI: ; @bluestein_single_back_len1040_dim1_half_op_CI_CI
; %bb.0:
	s_load_dwordx4 s[0:3], s[4:5], 0x28
	v_mul_u32_u24_e32 v1, 0x13c, v0
	v_add_u32_sdwa v19, s6, v1 dst_sel:DWORD dst_unused:UNUSED_PAD src0_sel:DWORD src1_sel:WORD_1
	v_mov_b32_e32 v20, 0
	s_waitcnt lgkmcnt(0)
	v_cmp_gt_u64_e32 vcc, s[0:1], v[19:20]
	s_and_saveexec_b64 s[0:1], vcc
	s_cbranch_execz .LBB0_23
; %bb.1:
	s_load_dwordx2 s[6:7], s[4:5], 0x0
	s_load_dwordx2 s[12:13], s[4:5], 0x38
	s_movk_i32 s0, 0xd0
	v_mul_lo_u16_sdwa v1, v1, s0 dst_sel:DWORD dst_unused:UNUSED_PAD src0_sel:WORD_1 src1_sel:DWORD
	v_sub_u16_e32 v38, v0, v1
	s_movk_i32 s0, 0x50
	v_cmp_gt_u16_e64 s[0:1], s0, v38
	v_lshlrev_b32_e32 v37, 2, v38
	s_and_saveexec_b64 s[14:15], s[0:1]
	s_cbranch_execz .LBB0_3
; %bb.2:
	s_load_dwordx2 s[8:9], s[4:5], 0x18
	s_waitcnt lgkmcnt(0)
	s_load_dwordx4 s[8:11], s[8:9], 0x0
	s_waitcnt lgkmcnt(0)
	v_mad_u64_u32 v[0:1], s[16:17], s10, v19, 0
	v_mad_u64_u32 v[2:3], s[16:17], s8, v38, 0
	s_mul_i32 s16, s8, 0x140
	v_mad_u64_u32 v[4:5], s[10:11], s11, v19, v[1:2]
	v_mad_u64_u32 v[5:6], s[10:11], s9, v38, v[3:4]
	v_mov_b32_e32 v1, v4
	v_lshlrev_b64 v[0:1], 2, v[0:1]
	v_mov_b32_e32 v3, v5
	v_mov_b32_e32 v6, s3
	v_lshlrev_b64 v[2:3], 2, v[2:3]
	v_add_co_u32_e32 v5, vcc, s2, v0
	v_addc_co_u32_e32 v6, vcc, v6, v1, vcc
	v_add_co_u32_e32 v0, vcc, v5, v2
	s_mul_i32 s10, s9, 0x140
	s_mul_hi_u32 s11, s8, 0x140
	v_addc_co_u32_e32 v1, vcc, v6, v3, vcc
	s_add_i32 s10, s11, s10
	global_load_dword v7, v[0:1], off
	global_load_dword v8, v37, s[6:7]
	global_load_dword v9, v37, s[6:7] offset:320
	global_load_dword v10, v37, s[6:7] offset:640
	;; [unrolled: 1-line block ×7, first 2 shown]
	v_mov_b32_e32 v16, s10
	v_add_co_u32_e32 v0, vcc, s16, v0
	v_addc_co_u32_e32 v1, vcc, v1, v16, vcc
	v_mov_b32_e32 v17, s10
	global_load_dword v16, v[0:1], off
	v_add_co_u32_e32 v0, vcc, s16, v0
	v_addc_co_u32_e32 v1, vcc, v1, v17, vcc
	global_load_dword v17, v[0:1], off
	v_mov_b32_e32 v18, s10
	v_add_co_u32_e32 v0, vcc, s16, v0
	v_addc_co_u32_e32 v1, vcc, v1, v18, vcc
	v_mov_b32_e32 v20, s10
	global_load_dword v18, v[0:1], off
	v_add_co_u32_e32 v0, vcc, s16, v0
	v_addc_co_u32_e32 v1, vcc, v1, v20, vcc
	v_or_b32_e32 v4, 0x280, v38
	v_mov_b32_e32 v21, s10
	global_load_dword v20, v[0:1], off
	v_add_co_u32_e32 v0, vcc, s16, v0
	v_mad_u64_u32 v[2:3], s[2:3], s8, v4, 0
	v_addc_co_u32_e32 v1, vcc, v1, v21, vcc
	global_load_dword v21, v[0:1], off
	v_mov_b32_e32 v22, s10
	v_add_co_u32_e32 v0, vcc, s16, v0
	v_mad_u64_u32 v[3:4], s[2:3], s9, v4, v[3:4]
	v_addc_co_u32_e32 v1, vcc, v1, v22, vcc
	global_load_dword v22, v[0:1], off
	v_mov_b32_e32 v23, s10
	v_add_co_u32_e32 v0, vcc, s16, v0
	v_addc_co_u32_e32 v1, vcc, v1, v23, vcc
	v_lshlrev_b64 v[2:3], 2, v[2:3]
	global_load_dword v23, v[0:1], off
	v_mov_b32_e32 v4, 0x280
	v_add_co_u32_e32 v2, vcc, v5, v2
	v_addc_co_u32_e32 v3, vcc, v6, v3, vcc
	v_mad_u64_u32 v[0:1], s[2:3], s8, v4, v[0:1]
	global_load_dword v2, v[2:3], off
	s_nop 0
	global_load_dword v3, v37, s[6:7] offset:2560
	global_load_dword v4, v37, s[6:7] offset:2880
	s_mul_i32 s2, s9, 0x280
	v_add_u32_e32 v1, s2, v1
	global_load_dword v6, v[0:1], off
	v_mov_b32_e32 v5, s10
	v_add_co_u32_e32 v0, vcc, s16, v0
	v_addc_co_u32_e32 v1, vcc, v1, v5, vcc
	global_load_dword v5, v[0:1], off
	global_load_dword v27, v37, s[6:7] offset:3200
	v_mov_b32_e32 v26, s10
	v_add_co_u32_e32 v0, vcc, s16, v0
	v_addc_co_u32_e32 v1, vcc, v1, v26, vcc
	global_load_dword v26, v[0:1], off
	global_load_dword v28, v37, s[6:7] offset:3520
	;; [unrolled: 5-line block ×3, first 2 shown]
	s_waitcnt vmcnt(25)
	v_lshrrev_b32_e32 v24, 16, v7
	s_waitcnt vmcnt(24)
	v_mul_f16_sdwa v25, v8, v7 dst_sel:DWORD dst_unused:UNUSED_PAD src0_sel:WORD_1 src1_sel:DWORD
	v_fma_f16 v25, v8, v24, -v25
	v_mul_f16_sdwa v24, v8, v24 dst_sel:DWORD dst_unused:UNUSED_PAD src0_sel:WORD_1 src1_sel:DWORD
	v_fma_f16 v0, v8, v7, v24
	v_pack_b32_f16 v0, v0, v25
	s_waitcnt vmcnt(16)
	v_lshrrev_b32_e32 v1, 16, v16
	v_mul_f16_sdwa v7, v9, v16 dst_sel:DWORD dst_unused:UNUSED_PAD src0_sel:WORD_1 src1_sel:DWORD
	v_fma_f16 v7, v9, v1, -v7
	v_mul_f16_sdwa v1, v9, v1 dst_sel:DWORD dst_unused:UNUSED_PAD src0_sel:WORD_1 src1_sel:DWORD
	v_fma_f16 v1, v9, v16, v1
	v_pack_b32_f16 v1, v1, v7
	s_waitcnt vmcnt(15)
	v_lshrrev_b32_e32 v8, 16, v17
	v_mul_f16_sdwa v9, v10, v17 dst_sel:DWORD dst_unused:UNUSED_PAD src0_sel:WORD_1 src1_sel:DWORD
	ds_write2_b32 v37, v0, v1 offset1:80
	v_fma_f16 v9, v10, v8, -v9
	v_mul_f16_sdwa v8, v10, v8 dst_sel:DWORD dst_unused:UNUSED_PAD src0_sel:WORD_1 src1_sel:DWORD
	v_fma_f16 v8, v10, v17, v8
	s_waitcnt vmcnt(14)
	v_lshrrev_b32_e32 v0, 16, v18
	v_mul_f16_sdwa v1, v11, v18 dst_sel:DWORD dst_unused:UNUSED_PAD src0_sel:WORD_1 src1_sel:DWORD
	v_fma_f16 v1, v11, v0, -v1
	v_mul_f16_sdwa v0, v11, v0 dst_sel:DWORD dst_unused:UNUSED_PAD src0_sel:WORD_1 src1_sel:DWORD
	v_fma_f16 v0, v11, v18, v0
	v_pack_b32_f16 v8, v8, v9
	v_pack_b32_f16 v0, v0, v1
	s_waitcnt vmcnt(13)
	v_lshrrev_b32_e32 v7, 16, v20
	v_mul_f16_sdwa v10, v12, v20 dst_sel:DWORD dst_unused:UNUSED_PAD src0_sel:WORD_1 src1_sel:DWORD
	v_fma_f16 v10, v12, v7, -v10
	v_mul_f16_sdwa v7, v12, v7 dst_sel:DWORD dst_unused:UNUSED_PAD src0_sel:WORD_1 src1_sel:DWORD
	v_fma_f16 v7, v12, v20, v7
	v_add_u32_e32 v11, 0x400, v37
	v_pack_b32_f16 v7, v7, v10
	s_waitcnt vmcnt(12)
	v_lshrrev_b32_e32 v9, 16, v21
	v_mul_f16_sdwa v1, v13, v21 dst_sel:DWORD dst_unused:UNUSED_PAD src0_sel:WORD_1 src1_sel:DWORD
	v_fma_f16 v1, v13, v9, -v1
	v_mul_f16_sdwa v9, v13, v9 dst_sel:DWORD dst_unused:UNUSED_PAD src0_sel:WORD_1 src1_sel:DWORD
	v_fma_f16 v9, v13, v21, v9
	v_pack_b32_f16 v1, v9, v1
	ds_write2_b32 v11, v7, v1 offset0:64 offset1:144
	ds_write2_b32 v37, v8, v0 offset0:160 offset1:240
	s_waitcnt vmcnt(11)
	v_lshrrev_b32_e32 v0, 16, v22
	v_mul_f16_sdwa v1, v14, v0 dst_sel:DWORD dst_unused:UNUSED_PAD src0_sel:WORD_1 src1_sel:DWORD
	v_mul_f16_sdwa v7, v14, v22 dst_sel:DWORD dst_unused:UNUSED_PAD src0_sel:WORD_1 src1_sel:DWORD
	v_fma_f16 v1, v14, v22, v1
	v_fma_f16 v0, v14, v0, -v7
	v_pack_b32_f16 v0, v1, v0
	s_waitcnt vmcnt(10)
	v_lshrrev_b32_e32 v1, 16, v23
	v_mul_f16_sdwa v7, v15, v1 dst_sel:DWORD dst_unused:UNUSED_PAD src0_sel:WORD_1 src1_sel:DWORD
	v_mul_f16_sdwa v8, v15, v23 dst_sel:DWORD dst_unused:UNUSED_PAD src0_sel:WORD_1 src1_sel:DWORD
	v_fma_f16 v7, v15, v23, v7
	v_fma_f16 v1, v15, v1, -v8
	v_pack_b32_f16 v1, v7, v1
	v_add_u32_e32 v7, 0x600, v37
	ds_write2_b32 v7, v0, v1 offset0:96 offset1:176
	s_waitcnt vmcnt(9)
	v_lshrrev_b32_e32 v0, 16, v2
	s_waitcnt vmcnt(8)
	v_mul_f16_sdwa v1, v3, v0 dst_sel:DWORD dst_unused:UNUSED_PAD src0_sel:WORD_1 src1_sel:DWORD
	v_fma_f16 v1, v3, v2, v1
	v_mul_f16_sdwa v2, v3, v2 dst_sel:DWORD dst_unused:UNUSED_PAD src0_sel:WORD_1 src1_sel:DWORD
	v_fma_f16 v0, v3, v0, -v2
	v_pack_b32_f16 v0, v1, v0
	s_waitcnt vmcnt(6)
	v_lshrrev_b32_e32 v1, 16, v6
	v_mul_f16_sdwa v2, v4, v1 dst_sel:DWORD dst_unused:UNUSED_PAD src0_sel:WORD_1 src1_sel:DWORD
	v_mul_f16_sdwa v3, v4, v6 dst_sel:DWORD dst_unused:UNUSED_PAD src0_sel:WORD_1 src1_sel:DWORD
	v_fma_f16 v2, v4, v6, v2
	v_fma_f16 v1, v4, v1, -v3
	v_pack_b32_f16 v1, v2, v1
	v_add_u32_e32 v2, 0x800, v37
	ds_write2_b32 v2, v0, v1 offset0:128 offset1:208
	s_waitcnt vmcnt(5)
	v_lshrrev_b32_e32 v0, 16, v5
	s_waitcnt vmcnt(4)
	v_mul_f16_sdwa v1, v27, v0 dst_sel:DWORD dst_unused:UNUSED_PAD src0_sel:WORD_1 src1_sel:DWORD
	v_mul_f16_sdwa v2, v27, v5 dst_sel:DWORD dst_unused:UNUSED_PAD src0_sel:WORD_1 src1_sel:DWORD
	v_fma_f16 v1, v27, v5, v1
	v_fma_f16 v0, v27, v0, -v2
	v_pack_b32_f16 v0, v1, v0
	s_waitcnt vmcnt(3)
	v_lshrrev_b32_e32 v1, 16, v26
	s_waitcnt vmcnt(2)
	v_mul_f16_sdwa v2, v28, v1 dst_sel:DWORD dst_unused:UNUSED_PAD src0_sel:WORD_1 src1_sel:DWORD
	v_mul_f16_sdwa v3, v28, v26 dst_sel:DWORD dst_unused:UNUSED_PAD src0_sel:WORD_1 src1_sel:DWORD
	v_fma_f16 v2, v28, v26, v2
	v_fma_f16 v1, v28, v1, -v3
	v_pack_b32_f16 v1, v2, v1
	v_add_u32_e32 v2, 0xc00, v37
	ds_write2_b32 v2, v0, v1 offset0:32 offset1:112
	s_waitcnt vmcnt(1)
	v_lshrrev_b32_e32 v0, 16, v29
	s_waitcnt vmcnt(0)
	v_mul_f16_sdwa v1, v30, v0 dst_sel:DWORD dst_unused:UNUSED_PAD src0_sel:WORD_1 src1_sel:DWORD
	v_mul_f16_sdwa v2, v30, v29 dst_sel:DWORD dst_unused:UNUSED_PAD src0_sel:WORD_1 src1_sel:DWORD
	v_fma_f16 v1, v30, v29, v1
	v_fma_f16 v0, v30, v0, -v2
	v_pack_b32_f16 v0, v1, v0
	ds_write_b32 v37, v0 offset:3840
.LBB0_3:
	s_or_b64 exec, exec, s[14:15]
	v_mov_b32_e32 v0, 0
	s_waitcnt lgkmcnt(0)
	s_barrier
	s_waitcnt lgkmcnt(0)
                                        ; implicit-def: $vgpr3
                                        ; implicit-def: $vgpr6
                                        ; implicit-def: $vgpr9
                                        ; implicit-def: $vgpr4
                                        ; implicit-def: $vgpr11
                                        ; implicit-def: $vgpr16
	s_and_saveexec_b64 s[2:3], s[0:1]
	s_cbranch_execz .LBB0_5
; %bb.4:
	v_add_u32_e32 v2, 0x400, v37
	v_add_u32_e32 v4, 0x800, v37
	ds_read2_b32 v[0:1], v37 offset1:80
	ds_read2_b32 v[10:11], v37 offset0:160 offset1:240
	ds_read2_b32 v[8:9], v2 offset0:64 offset1:144
	v_add_u32_e32 v2, 0x600, v37
	ds_read2_b32 v[6:7], v4 offset0:128 offset1:208
	v_add_u32_e32 v4, 0xc00, v37
	ds_read2_b32 v[2:3], v2 offset0:96 offset1:176
	ds_read2_b32 v[4:5], v4 offset0:32 offset1:112
	ds_read_b32 v16, v37 offset:3840
.LBB0_5:
	s_or_b64 exec, exec, s[2:3]
	s_waitcnt lgkmcnt(6)
	v_pk_add_f16 v12, v1, v0
	s_waitcnt lgkmcnt(1)
	v_pk_add_f16 v17, v5, v10
	v_pk_add_f16 v25, v10, v5 neg_lo:[0,1] neg_hi:[0,1]
	v_pk_add_f16 v10, v10, v12
	s_mov_b32 s8, 0xba95
	v_pk_add_f16 v18, v4, v11
	v_pk_add_f16 v26, v11, v4 neg_lo:[0,1] neg_hi:[0,1]
	v_pk_add_f16 v11, v11, v10
	s_movk_i32 s2, 0x388b
	s_mov_b32 s9, 0xbbf1
	v_pk_add_f16 v24, v7, v8
	v_pk_add_f16 v27, v8, v7 neg_lo:[0,1] neg_hi:[0,1]
	v_pk_add_f16 v8, v8, v11
	v_mul_f16_sdwa v11, v25, s8 dst_sel:DWORD dst_unused:UNUSED_PAD src0_sel:WORD_1 src1_sel:DWORD
	s_movk_i32 s3, 0x2fb7
	v_fma_f16 v12, v17, s2, -v11
	v_mul_f16_sdwa v29, v26, s9 dst_sel:DWORD dst_unused:UNUSED_PAD src0_sel:WORD_1 src1_sel:DWORD
	v_alignbit_b32 v28, v12, v6, 16
	v_fma_f16 v12, v18, s3, -v29
	v_lshrrev_b32_e32 v31, 16, v17
	v_mul_f16_e32 v32, 0xba95, v25
	v_alignbit_b32 v30, v12, v7, 16
	s_mov_b32 s10, 0x5040100
	v_fma_f16 v12, v31, s2, v32
	v_lshrrev_b32_e32 v33, 16, v18
	v_mul_f16_e32 v34, 0xbbf1, v26
	s_mov_b32 s15, 0xbb7b
	v_pk_add_f16 v10, v6, v9
	v_pk_add_f16 v8, v9, v8
	v_pk_add_f16 v9, v9, v6 neg_lo:[0,1] neg_hi:[0,1]
	v_perm_b32 v6, v6, v12, s10
	v_fma_f16 v12, v33, s3, v34
	s_mov_b32 s11, 0xb5ac
	s_mov_b32 s20, 0xb94e
	v_mul_f16_sdwa v35, v27, s15 dst_sel:DWORD dst_unused:UNUSED_PAD src0_sel:WORD_1 src1_sel:DWORD
	v_perm_b32 v7, v7, v12, s10
	s_mov_b32 s14, 0xb9fd
	v_fma_f16 v12, v24, s11, -v35
	v_mul_f16_sdwa v39, v9, s20 dst_sel:DWORD dst_unused:UNUSED_PAD src0_sel:WORD_1 src1_sel:DWORD
	v_alignbit_b32 v36, v12, v4, 16
	v_fma_f16 v12, v10, s14, -v39
	v_lshrrev_b32_e32 v41, 16, v24
	v_mul_f16_e32 v42, 0xbb7b, v27
	v_alignbit_b32 v40, v12, v5, 16
	v_fma_f16 v12, v41, s11, v42
	v_lshrrev_b32_e32 v43, 16, v10
	v_mul_f16_e32 v44, 0xb94e, v9
	s_waitcnt lgkmcnt(0)
	v_pk_add_f16 v45, v16, v1
	v_pk_add_f16 v1, v1, v16 neg_lo:[0,1] neg_hi:[0,1]
	v_perm_b32 v4, v4, v12, s10
	v_fma_f16 v12, v43, s14, v44
	v_mul_f16_sdwa v14, v1, s8 dst_sel:DWORD dst_unused:UNUSED_PAD src0_sel:WORD_1 src1_sel:DWORD
	v_perm_b32 v5, v5, v12, s10
	v_fma_f16 v12, v45, s2, -v14
	v_mul_f16_sdwa v15, v25, s15 dst_sel:DWORD dst_unused:UNUSED_PAD src0_sel:WORD_1 src1_sel:DWORD
	v_add_f16_e32 v12, v12, v0
	v_fma_f16 v13, v17, s11, -v15
	s_mov_b32 s17, 0xb3a8
	v_mul_f16_sdwa v20, v1, s9 dst_sel:DWORD dst_unused:UNUSED_PAD src0_sel:WORD_1 src1_sel:DWORD
	v_add_f16_e32 v12, v13, v12
	s_mov_b32 s16, 0xbbc4
	v_fma_f16 v13, v45, s3, -v20
	v_mul_f16_sdwa v21, v25, s17 dst_sel:DWORD dst_unused:UNUSED_PAD src0_sel:WORD_1 src1_sel:DWORD
	v_add_f16_e32 v13, v13, v0
	v_fma_f16 v22, v17, s16, -v21
	v_add_f16_e32 v13, v22, v13
	v_mul_f16_sdwa v22, v26, s17 dst_sel:DWORD dst_unused:UNUSED_PAD src0_sel:WORD_1 src1_sel:DWORD
	v_fma_f16 v23, v18, s16, -v22
	s_movk_i32 s18, 0x3b7b
	v_add_f16_e32 v12, v23, v12
	v_mul_f16_sdwa v23, v26, s18 dst_sel:DWORD dst_unused:UNUSED_PAD src0_sel:WORD_1 src1_sel:DWORD
	v_fma_f16 v46, v18, s11, -v23
	s_movk_i32 s22, 0x394e
	;; [unrolled: 4-line block ×3, first 2 shown]
	v_fma_f16 v14, v45, s2, v14
	v_add_f16_e32 v12, v47, v12
	s_movk_i32 s19, 0x3b15
	v_mul_f16_sdwa v47, v27, s21 dst_sel:DWORD dst_unused:UNUSED_PAD src0_sel:WORD_1 src1_sel:DWORD
	v_fma_f16 v15, v17, s11, v15
	v_add_f16_e32 v14, v14, v0
	v_fma_f16 v48, v24, s19, -v47
	s_movk_i32 s18, 0x3bf1
	v_add_f16_e32 v14, v15, v14
	v_fma_f16 v15, v45, s3, v20
	v_add_f16_e32 v13, v48, v13
	v_mul_f16_sdwa v48, v9, s18 dst_sel:DWORD dst_unused:UNUSED_PAD src0_sel:WORD_1 src1_sel:DWORD
	v_fma_f16 v20, v17, s16, v21
	v_add_f16_e32 v15, v15, v0
	v_fma_f16 v49, v10, s3, -v48
	v_add_f16_e32 v15, v20, v15
	v_fma_f16 v20, v18, s16, v22
	v_add_f16_e32 v12, v49, v12
	v_mul_f16_sdwa v49, v9, s8 dst_sel:DWORD dst_unused:UNUSED_PAD src0_sel:WORD_1 src1_sel:DWORD
	v_add_f16_e32 v14, v20, v14
	v_fma_f16 v20, v18, s11, v23
	v_fma_f16 v50, v10, s2, -v49
	v_pk_add_f16 v51, v2, v3 neg_lo:[0,1] neg_hi:[0,1]
	v_add_f16_e32 v15, v20, v15
	v_fma_f16 v20, v24, s14, v46
	v_add_f16_e32 v13, v50, v13
	v_pk_add_f16 v50, v3, v2
	v_mul_f16_sdwa v52, v51, s21 dst_sel:DWORD dst_unused:UNUSED_PAD src0_sel:WORD_1 src1_sel:DWORD
	v_add_f16_e32 v14, v20, v14
	v_fma_f16 v20, v24, s19, v47
	v_fma_f16 v53, v50, s19, -v52
	v_add_f16_e32 v15, v20, v15
	v_fma_f16 v20, v10, s3, v48
	v_add_f16_e32 v12, v53, v12
	v_mul_f16_sdwa v53, v51, s20 dst_sel:DWORD dst_unused:UNUSED_PAD src0_sel:WORD_1 src1_sel:DWORD
	v_add_f16_e32 v14, v20, v14
	v_fma_f16 v20, v10, s2, v49
	v_add_f16_e32 v20, v20, v15
	v_fma_f16 v15, v50, s19, v52
	v_fma_f16 v21, v50, s14, v53
	v_mul_f16_sdwa v22, v1, s15 dst_sel:DWORD dst_unused:UNUSED_PAD src0_sel:WORD_1 src1_sel:DWORD
	v_add_f16_e32 v15, v15, v14
	v_add_f16_e32 v14, v21, v20
	v_fma_f16 v20, v45, s11, -v22
	v_mul_f16_sdwa v23, v25, s22 dst_sel:DWORD dst_unused:UNUSED_PAD src0_sel:WORD_1 src1_sel:DWORD
	v_add_f16_e32 v20, v20, v0
	v_fma_f16 v21, v17, s14, -v23
	v_mul_f16_sdwa v46, v1, s20 dst_sel:DWORD dst_unused:UNUSED_PAD src0_sel:WORD_1 src1_sel:DWORD
	;; [unrolled: 3-line block ×3, first 2 shown]
	v_add_f16_e32 v21, v21, v0
	v_fma_f16 v48, v17, s3, -v47
	v_add_f16_e32 v21, v48, v21
	v_mul_f16_sdwa v48, v26, s21 dst_sel:DWORD dst_unused:UNUSED_PAD src0_sel:WORD_1 src1_sel:DWORD
	v_fma_f16 v49, v18, s19, -v48
	v_add_f16_e32 v20, v49, v20
	v_mul_f16_sdwa v49, v26, s8 dst_sel:DWORD dst_unused:UNUSED_PAD src0_sel:WORD_1 src1_sel:DWORD
	v_fma_f16 v52, v18, s2, -v49
	v_add_f16_e32 v21, v52, v21
	v_mul_f16_sdwa v52, v27, s9 dst_sel:DWORD dst_unused:UNUSED_PAD src0_sel:WORD_1 src1_sel:DWORD
	v_fma_f16 v54, v50, s14, -v53
	v_fma_f16 v53, v24, s3, -v52
	s_movk_i32 s8, 0x33a8
	v_fma_f16 v22, v45, s11, v22
	v_add_f16_e32 v20, v53, v20
	v_mul_f16_sdwa v53, v27, s8 dst_sel:DWORD dst_unused:UNUSED_PAD src0_sel:WORD_1 src1_sel:DWORD
	v_fma_f16 v23, v17, s14, v23
	v_add_f16_e32 v22, v22, v0
	v_add_f16_e32 v13, v54, v13
	v_fma_f16 v54, v24, s16, -v53
	v_add_f16_e32 v22, v23, v22
	v_fma_f16 v23, v45, s14, v46
	v_add_f16_e32 v21, v54, v21
	v_mul_f16_sdwa v54, v9, s8 dst_sel:DWORD dst_unused:UNUSED_PAD src0_sel:WORD_1 src1_sel:DWORD
	v_fma_f16 v46, v17, s3, v47
	v_add_f16_e32 v23, v23, v0
	v_fma_f16 v55, v10, s16, -v54
	v_add_f16_e32 v23, v46, v23
	v_fma_f16 v46, v18, s19, v48
	v_add_f16_e32 v20, v55, v20
	v_mul_f16_sdwa v55, v9, s21 dst_sel:DWORD dst_unused:UNUSED_PAD src0_sel:WORD_1 src1_sel:DWORD
	v_add_f16_e32 v22, v46, v22
	v_fma_f16 v46, v18, s2, v49
	v_fma_f16 v56, v10, s19, -v55
	s_movk_i32 s8, 0x3a95
	v_add_f16_e32 v23, v46, v23
	v_fma_f16 v46, v24, s3, v52
	v_add_f16_e32 v21, v56, v21
	v_mul_f16_sdwa v56, v51, s8 dst_sel:DWORD dst_unused:UNUSED_PAD src0_sel:WORD_1 src1_sel:DWORD
	v_add_f16_e32 v22, v46, v22
	v_fma_f16 v46, v24, s16, v53
	v_fma_f16 v57, v50, s2, -v56
	v_add_f16_e32 v23, v46, v23
	v_fma_f16 v46, v10, s16, v54
	v_add_f16_e32 v20, v57, v20
	v_mul_f16_sdwa v57, v51, s15 dst_sel:DWORD dst_unused:UNUSED_PAD src0_sel:WORD_1 src1_sel:DWORD
	v_add_f16_e32 v22, v46, v22
	v_fma_f16 v46, v10, s19, v55
	v_add_f16_e32 v46, v46, v23
	v_fma_f16 v23, v50, s2, v56
	v_fma_f16 v47, v50, s11, v57
	v_add_f16_e32 v23, v23, v22
	v_add_f16_e32 v22, v47, v46
	v_mul_f16_e32 v46, 0xbb7b, v25
	v_mul_f16_e32 v48, 0xb3a8, v25
	;; [unrolled: 1-line block ×4, first 2 shown]
	v_fma_f16 v58, v50, s11, -v57
	v_fma_f16 v32, v31, s2, -v32
	v_fma_f16 v47, v31, s11, v46
	v_fma_f16 v46, v31, s11, -v46
	v_fma_f16 v49, v31, s16, v48
	;; [unrolled: 2-line block ×4, first 2 shown]
	v_fma_f16 v31, v31, s3, -v54
	v_mul_f16_e32 v54, 0xb3a8, v26
	v_mul_f16_e32 v57, 0x3b7b, v26
	;; [unrolled: 1-line block ×4, first 2 shown]
	v_add_f16_e32 v21, v58, v21
	v_fma_f16 v34, v33, s3, -v34
	v_fma_f16 v56, v33, s16, v54
	v_fma_f16 v54, v33, s16, -v54
	v_fma_f16 v58, v33, s11, v57
	;; [unrolled: 2-line block ×4, first 2 shown]
	v_fma_f16 v33, v33, s2, -v61
	v_mul_f16_e32 v61, 0x394e, v27
	v_mul_f16_e32 v64, 0x3770, v27
	;; [unrolled: 1-line block ×4, first 2 shown]
	v_fma_f16 v42, v41, s11, -v42
	v_fma_f16 v63, v41, s14, v61
	v_fma_f16 v61, v41, s14, -v61
	v_fma_f16 v65, v41, s19, v64
	;; [unrolled: 2-line block ×4, first 2 shown]
	v_fma_f16 v41, v41, s16, -v68
	v_mul_f16_e32 v68, 0x3bf1, v9
	v_mul_f16_e32 v71, 0xba95, v9
	;; [unrolled: 1-line block ×4, first 2 shown]
	v_fma_f16 v44, v43, s14, -v44
	v_fma_f16 v70, v43, s3, v68
	v_fma_f16 v68, v43, s3, -v68
	v_fma_f16 v72, v43, s2, v71
	;; [unrolled: 2-line block ×4, first 2 shown]
	v_fma_f16 v43, v43, s19, -v75
	v_lshrrev_b32_e32 v75, 16, v50
	v_mul_f16_e32 v77, 0xb3a8, v51
	v_mul_f16_e32 v79, 0x3770, v51
	;; [unrolled: 1-line block ×5, first 2 shown]
	s_mov_b32 s9, 0xb770
	v_fma_f16 v78, v75, s16, v77
	v_fma_f16 v77, v75, s16, -v77
	v_fma_f16 v80, v75, s19, v79
	v_fma_f16 v79, v75, s19, -v79
	;; [unrolled: 2-line block ×5, first 2 shown]
	v_mul_f16_sdwa v85, v1, s9 dst_sel:DWORD dst_unused:UNUSED_PAD src0_sel:WORD_1 src1_sel:DWORD
	v_fma_f16 v87, v45, s19, v85
	v_fma_f16 v11, v17, s2, v11
	v_add_f16_e32 v87, v87, v0
	v_add_f16_e32 v11, v11, v87
	v_lshrrev_b32_e32 v87, 16, v45
	v_mul_f16_e32 v88, 0xb770, v1
	v_fma_f16 v89, v87, s19, -v88
	v_add_f16_sdwa v89, v89, v0 dst_sel:DWORD dst_unused:UNUSED_PAD src0_sel:DWORD src1_sel:WORD_1
	v_add_f16_e32 v32, v32, v89
	v_mul_f16_e32 v89, 0xba95, v1
	v_fma_f16 v90, v87, s2, v89
	v_fma_f16 v89, v87, s2, -v89
	v_add_f16_sdwa v89, v89, v0 dst_sel:DWORD dst_unused:UNUSED_PAD src0_sel:DWORD src1_sel:WORD_1
	v_add_f16_sdwa v90, v90, v0 dst_sel:DWORD dst_unused:UNUSED_PAD src0_sel:DWORD src1_sel:WORD_1
	v_add_f16_e32 v46, v46, v89
	v_mul_f16_e32 v89, 0xbbf1, v1
	v_add_f16_e32 v47, v47, v90
	v_fma_f16 v90, v87, s3, v89
	v_fma_f16 v89, v87, s3, -v89
	v_add_f16_sdwa v89, v89, v0 dst_sel:DWORD dst_unused:UNUSED_PAD src0_sel:DWORD src1_sel:WORD_1
	v_add_f16_sdwa v90, v90, v0 dst_sel:DWORD dst_unused:UNUSED_PAD src0_sel:DWORD src1_sel:WORD_1
	v_add_f16_e32 v48, v48, v89
	v_mul_f16_e32 v89, 0xbb7b, v1
	v_add_f16_e32 v49, v49, v90
	;; [unrolled: 7-line block ×3, first 2 shown]
	v_fma_f16 v90, v87, s14, v89
	v_fma_f16 v89, v87, s14, -v89
	v_add_f16_sdwa v89, v89, v0 dst_sel:DWORD dst_unused:UNUSED_PAD src0_sel:DWORD src1_sel:WORD_1
	v_pk_mul_f16 v1, v1, s17 op_sel_hi:[1,0]
	v_add_f16_sdwa v90, v90, v0 dst_sel:DWORD dst_unused:UNUSED_PAD src0_sel:DWORD src1_sel:WORD_1
	v_add_f16_e32 v31, v31, v89
	v_pk_fma_f16 v89, v45, s16, v1 op_sel:[0,0,1] op_sel_hi:[1,0,0] neg_lo:[0,0,1] neg_hi:[0,0,1]
	v_pk_mul_f16 v25, v25, s21 op_sel_hi:[1,0]
	v_add_f16_e32 v55, v55, v90
	v_pk_add_f16 v89, v89, v0
	v_pk_fma_f16 v90, v17, s19, v25 op_sel:[0,0,1] op_sel_hi:[1,0,0] neg_lo:[0,0,1] neg_hi:[0,0,1]
	v_pk_mul_f16 v26, v26, s20 op_sel_hi:[1,0]
	v_pk_add_f16 v89, v90, v89
	v_fma_f16 v29, v18, s3, v29
	v_add_f16_e32 v31, v33, v31
	v_pk_fma_f16 v33, v18, s14, v26 op_sel:[0,0,1] op_sel_hi:[1,0,0] neg_lo:[0,0,1] neg_hi:[0,0,1]
	v_pk_mul_f16 v27, v27, s8 op_sel_hi:[1,0]
	v_add_f16_e32 v11, v29, v11
	v_add_f16_e32 v29, v34, v32
	;; [unrolled: 1-line block ×9, first 2 shown]
	v_pk_add_f16 v33, v33, v89
	v_fma_f16 v35, v24, s11, v35
	v_add_f16_e32 v31, v41, v31
	v_pk_fma_f16 v41, v24, s2, v27 op_sel:[0,0,1] op_sel_hi:[1,0,0] neg_lo:[0,0,1] neg_hi:[0,0,1]
	v_pk_fma_f16 v1, v45, s16, v1 op_sel:[0,0,1] op_sel_hi:[1,0,0]
	v_add_f16_e32 v11, v35, v11
	v_add_f16_e32 v29, v42, v29
	;; [unrolled: 1-line block ×7, first 2 shown]
	v_pk_add_f16 v33, v41, v33
	v_pk_add_f16 v1, v1, v0
	v_alignbit_b32 v41, v0, v3, 16
	v_alignbit_b32 v0, v3, v0, 16
	;; [unrolled: 1-line block ×3, first 2 shown]
	v_perm_b32 v49, v2, v88, s10
	v_alignbit_b32 v2, s0, v2, 16
	v_alignbit_b32 v52, s0, v8, 16
	v_mul_f16_sdwa v45, v45, s19 dst_sel:WORD_1 dst_unused:UNUSED_PAD src0_sel:DWORD src1_sel:DWORD
	v_pk_add_f16 v2, v52, v2
	v_pk_add_f16 v3, v45, v3 neg_lo:[0,1] neg_hi:[0,1]
	s_mov_b32 s8, 0xffff
	v_bfi_b32 v2, s8, v2, v3
	v_pk_add_f16 v2, v41, v2
	v_mul_f16_e32 v3, 0x3b15, v87
	v_pk_add_f16 v2, v28, v2
	v_pack_b32_f16 v3, v3, v8
	v_pk_add_f16 v2, v30, v2
	v_pk_add_f16 v3, v49, v3
	v_pk_add_f16 v2, v36, v2
	v_pk_add_f16 v0, v3, v0
	v_pk_mul_f16 v9, v9, s15 op_sel_hi:[1,0]
	v_pk_add_f16 v2, v40, v2
	v_pk_add_f16 v0, v6, v0
	v_pk_fma_f16 v28, v10, s11, v9 op_sel:[0,0,1] op_sel_hi:[1,0,0] neg_lo:[0,0,1] neg_hi:[0,0,1]
	v_mul_f16_sdwa v40, v51, s17 dst_sel:DWORD dst_unused:UNUSED_PAD src0_sel:WORD_1 src1_sel:DWORD
	v_pk_add_f16 v0, v7, v0
	v_fma_f16 v3, v10, s14, v39
	v_pk_add_f16 v39, v28, v33
	v_fma_f16 v28, v50, s16, -v40
	v_add_f16_e32 v32, v63, v32
	v_pk_add_f16 v0, v4, v0
	v_alignbit_b32 v28, v28, v16, 16
	v_pk_add_f16 v0, v5, v0
	v_add_f16_e32 v5, v70, v32
	v_pk_add_f16 v32, v28, v2
	v_perm_b32 v2, v16, v78, s10
	v_pk_add_f16 v28, v2, v0
	v_pk_fma_f16 v0, v17, s19, v25 op_sel:[0,0,1] op_sel_hi:[1,0,0]
	v_pk_add_f16 v0, v0, v1
	v_pk_fma_f16 v1, v18, s14, v26 op_sel:[0,0,1] op_sel_hi:[1,0,0]
	s_load_dwordx2 s[14:15], s[4:5], 0x8
	v_pk_add_f16 v0, v1, v0
	v_pk_fma_f16 v1, v24, s2, v27 op_sel:[0,0,1] op_sel_hi:[1,0,0]
	v_add_f16_e32 v34, v61, v34
	v_add_f16_e32 v4, v44, v29
	v_pk_add_f16 v0, v1, v0
	v_pk_fma_f16 v1, v10, s11, v9 op_sel:[0,0,1] op_sel_hi:[1,0,0]
	v_pk_mul_f16 v2, v51, s18 op_sel_hi:[1,0]
	v_add_f16_e32 v3, v3, v11
	v_add_f16_e32 v6, v68, v34
	;; [unrolled: 1-line block ×9, first 2 shown]
	v_pk_add_f16 v0, v1, v0
	v_fma_f16 v1, v50, s16, v40
	v_pk_fma_f16 v4, v50, s3, v2 op_sel:[0,0,1] op_sel_hi:[1,0,0] neg_lo:[0,0,1] neg_hi:[0,0,1]
	v_pk_fma_f16 v2, v50, s3, v2 op_sel:[0,0,1] op_sel_hi:[1,0,0]
	v_add_f16_e32 v33, v80, v5
	v_add_f16_e32 v45, v79, v6
	;; [unrolled: 1-line block ×8, first 2 shown]
	v_pk_add_f16 v24, v4, v39
	v_add_f16_e32 v26, v1, v3
	v_pk_add_f16 v25, v2, v0
	v_mul_lo_u16_e32 v41, 13, v38
	s_waitcnt lgkmcnt(0)
	s_barrier
	s_and_saveexec_b64 s[2:3], s[0:1]
	s_cbranch_execz .LBB0_7
; %bb.6:
	v_lshlrev_b32_e32 v0, 2, v41
	v_alignbit_b32 v1, v28, v32, 16
	v_alignbit_b32 v2, v32, v28, 16
	ds_write2_b32 v0, v2, v1 offset1:1
	v_perm_b32 v1, v35, v13, s10
	v_perm_b32 v2, v33, v12, s10
	ds_write2_b32 v0, v2, v1 offset0:2 offset1:3
	v_perm_b32 v1, v42, v21, s10
	v_perm_b32 v2, v36, v20, s10
	ds_write2_b32 v0, v2, v1 offset0:4 offset1:5
	v_bfi_b32 v1, s8, v25, v24
	v_bfi_b32 v2, s8, v24, v25
	ds_write2_b32 v0, v2, v1 offset0:6 offset1:7
	v_perm_b32 v1, v44, v23, s10
	v_perm_b32 v2, v34, v22, s10
	ds_write2_b32 v0, v2, v1 offset0:8 offset1:9
	v_perm_b32 v1, v45, v15, s10
	v_perm_b32 v2, v46, v14, s10
	ds_write2_b32 v0, v2, v1 offset0:10 offset1:11
	v_perm_b32 v1, v43, v26, s10
	ds_write_b32 v0, v1 offset:48
.LBB0_7:
	s_or_b64 exec, exec, s[2:3]
	s_load_dwordx2 s[4:5], s[4:5], 0x20
	s_movk_i32 s2, 0x41
	v_cmp_gt_u16_e64 s[2:3], s2, v38
	v_lshrrev_b32_e32 v29, 16, v32
	v_lshrrev_b32_e32 v47, 16, v25
	s_waitcnt lgkmcnt(0)
	s_barrier
	s_waitcnt lgkmcnt(0)
                                        ; implicit-def: $vgpr31
                                        ; implicit-def: $vgpr48
                                        ; implicit-def: $vgpr49
                                        ; implicit-def: $vgpr50
	s_and_saveexec_b64 s[8:9], s[2:3]
	s_cbranch_execz .LBB0_9
; %bb.8:
	v_add_u32_e32 v0, 0x400, v37
	ds_read2_b32 v[28:29], v37 offset1:65
	ds_read2_b32 v[12:13], v37 offset0:130 offset1:195
	ds_read2_b32 v[20:21], v0 offset0:4 offset1:69
	;; [unrolled: 1-line block ×3, first 2 shown]
	v_add_u32_e32 v0, 0x800, v37
	ds_read2_b32 v[22:23], v0 offset0:8 offset1:73
	ds_read2_b32 v[14:15], v0 offset0:138 offset1:203
	v_add_u32_e32 v0, 0xc00, v37
	ds_read2_b32 v[26:27], v0 offset0:12 offset1:77
	ds_read2_b32 v[30:31], v0 offset0:142 offset1:207
	s_mov_b32 s10, 0xffff
	s_waitcnt lgkmcnt(7)
	v_lshrrev_b32_e32 v32, 16, v28
	s_waitcnt lgkmcnt(6)
	v_lshrrev_b32_e32 v33, 16, v12
	v_lshrrev_b32_e32 v35, 16, v13
	s_waitcnt lgkmcnt(5)
	v_lshrrev_b32_e32 v36, 16, v20
	;; [unrolled: 3-line block ×3, first 2 shown]
	s_waitcnt lgkmcnt(3)
	v_lshrrev_b32_e32 v34, 16, v22
	v_lshrrev_b32_e32 v44, 16, v23
	s_waitcnt lgkmcnt(2)
	v_lshrrev_b32_e32 v46, 16, v14
	v_lshrrev_b32_e32 v45, 16, v15
	;; [unrolled: 3-line block ×4, first 2 shown]
	v_bfi_b32 v24, s10, v24, v25
	v_alignbit_b32 v28, v28, v29, 16
.LBB0_9:
	s_or_b64 exec, exec, s[8:9]
	s_movk_i32 s8, 0x4f
	v_mul_lo_u16_sdwa v0, v38, s8 dst_sel:DWORD dst_unused:UNUSED_PAD src0_sel:BYTE_0 src1_sel:DWORD
	v_lshrrev_b16_e32 v39, 10, v0
	v_mul_lo_u16_e32 v0, 13, v39
	v_sub_u16_e32 v0, v38, v0
	v_and_b32_e32 v40, 0xff, v0
	v_mad_u64_u32 v[51:52], s[8:9], v40, 60, s[14:15]
	s_mov_b32 s8, 0xb9a8
	s_movk_i32 s9, 0x39a8
	global_load_dwordx4 v[0:3], v[51:52], off
	global_load_dwordx4 v[4:7], v[51:52], off offset:16
	global_load_dwordx4 v[8:11], v[51:52], off offset:32
	global_load_dwordx3 v[16:18], v[51:52], off offset:48
	v_lshrrev_b32_e32 v51, 16, v24
	v_lshrrev_b32_e32 v52, 16, v28
	s_mov_b32 s10, 0xbb64
	s_mov_b32 s11, 0xb61f
	s_movk_i32 s16, 0x361f
	s_movk_i32 s17, 0x3b64
	s_waitcnt vmcnt(0)
	s_barrier
	v_mul_f16_sdwa v56, v12, v1 dst_sel:DWORD dst_unused:UNUSED_PAD src0_sel:DWORD src1_sel:WORD_1
	v_mul_f16_sdwa v60, v20, v3 dst_sel:DWORD dst_unused:UNUSED_PAD src0_sel:DWORD src1_sel:WORD_1
	;; [unrolled: 1-line block ×18, first 2 shown]
	v_fma_f16 v33, v33, v1, v56
	v_fma_f16 v36, v36, v3, v60
	;; [unrolled: 1-line block ×7, first 2 shown]
	v_mul_f16_sdwa v53, v28, v0 dst_sel:DWORD dst_unused:UNUSED_PAD src0_sel:DWORD src1_sel:WORD_1
	v_mul_f16_sdwa v57, v35, v2 dst_sel:DWORD dst_unused:UNUSED_PAD src0_sel:DWORD src1_sel:WORD_1
	;; [unrolled: 1-line block ×10, first 2 shown]
	v_fma_f16 v28, v28, v0, v54
	v_fma_f16 v12, v12, v1, -v55
	v_fma_f16 v42, v42, v4, v62
	v_fma_f16 v22, v22, v7, -v67
	v_fma_f16 v44, v44, v8, v70
	v_fma_f16 v14, v14, v9, -v71
	v_fma_f16 v50, v50, v16, v78
	v_sub_f16_e32 v34, v32, v34
	v_sub_f16_e32 v43, v36, v43
	;; [unrolled: 1-line block ×4, first 2 shown]
	v_mul_f16_sdwa v58, v13, v2 dst_sel:DWORD dst_unused:UNUSED_PAD src0_sel:DWORD src1_sel:WORD_1
	v_mul_f16_sdwa v74, v15, v10 dst_sel:DWORD dst_unused:UNUSED_PAD src0_sel:DWORD src1_sel:WORD_1
	v_fma_f16 v13, v13, v2, -v57
	v_fma_f16 v20, v20, v3, -v59
	;; [unrolled: 1-line block ×4, first 2 shown]
	v_fma_f16 v51, v51, v6, v66
	v_fma_f16 v15, v15, v10, -v73
	v_fma_f16 v26, v26, v11, -v75
	;; [unrolled: 1-line block ×4, first 2 shown]
	v_fma_f16 v48, v48, v18, v82
	v_sub_f16_e32 v22, v52, v22
	v_sub_f16_e32 v14, v12, v14
	;; [unrolled: 1-line block ×3, first 2 shown]
	v_fma_f16 v32, v32, 2.0, -v34
	v_fma_f16 v36, v36, 2.0, -v43
	;; [unrolled: 1-line block ×4, first 2 shown]
	v_sub_f16_e32 v50, v42, v50
	v_sub_f16_e32 v26, v20, v26
	;; [unrolled: 1-line block ×3, first 2 shown]
	v_fma_f16 v28, v28, 2.0, -v44
	v_fma_f16 v42, v42, 2.0, -v50
	v_sub_f16_e32 v15, v13, v15
	v_sub_f16_e32 v31, v25, v31
	;; [unrolled: 1-line block ×7, first 2 shown]
	v_fma_f16 v29, v29, v0, -v53
	v_fma_f16 v52, v52, 2.0, -v22
	v_fma_f16 v20, v20, 2.0, -v26
	;; [unrolled: 1-line block ×8, first 2 shown]
	v_add_f16_e32 v26, v34, v26
	v_fma_f16 v22, v22, 2.0, -v43
	v_fma_f16 v33, v33, 2.0, -v47
	v_add_f16_e32 v30, v46, v30
	v_fma_f16 v53, v14, 2.0, -v49
	v_sub_f16_e32 v42, v28, v42
	v_sub_f16_e32 v48, v15, v48
	v_fma_f16 v35, v35, v2, v58
	v_fma_f16 v21, v21, v4, -v61
	v_fma_f16 v23, v23, v8, -v69
	v_fma_f16 v45, v45, v10, v74
	v_fma_f16 v27, v27, v16, -v77
	v_sub_f16_e32 v20, v52, v20
	v_fma_f16 v34, v34, 2.0, -v26
	v_sub_f16_e32 v24, v12, v24
	v_fma_f16 v46, v46, 2.0, -v30
	v_fma_f16 v54, v28, 2.0, -v42
	v_sub_f16_e32 v25, v13, v25
	v_fma_f16 v57, v15, 2.0, -v48
	v_sub_f16_e32 v15, v32, v33
	v_fma_f16 v28, v53, s8, v22
	v_sub_f16_e32 v23, v29, v23
	v_sub_f16_e32 v27, v21, v27
	;; [unrolled: 1-line block ×3, first 2 shown]
	v_fma_f16 v52, v52, 2.0, -v20
	v_fma_f16 v12, v12, 2.0, -v24
	;; [unrolled: 1-line block ×4, first 2 shown]
	v_fma_f16 v32, v46, s8, v34
	v_fma_f16 v46, v46, s8, v28
	v_fma_f16 v29, v29, 2.0, -v23
	v_fma_f16 v21, v21, 2.0, -v27
	;; [unrolled: 1-line block ×3, first 2 shown]
	v_sub_f16_e32 v50, v23, v50
	v_add_f16_e32 v27, v44, v27
	v_add_f16_e32 v31, v45, v31
	v_sub_f16_e32 v14, v52, v12
	v_fma_f16 v28, v22, 2.0, -v46
	v_sub_f16_e32 v58, v20, v47
	v_fma_f16 v22, v30, s9, v26
	v_sub_f16_e32 v21, v29, v21
	v_fma_f16 v23, v23, 2.0, -v50
	v_fma_f16 v44, v44, 2.0, -v27
	v_sub_f16_e32 v51, v35, v51
	v_fma_f16 v45, v45, 2.0, -v31
	v_fma_f16 v12, v52, 2.0, -v14
	v_fma_f16 v52, v53, s9, v32
	v_add_f16_e32 v59, v36, v24
	v_fma_f16 v33, v20, 2.0, -v58
	v_fma_f16 v20, v49, s9, v43
	v_fma_f16 v61, v49, s9, v22
	v_fma_f16 v29, v29, 2.0, -v21
	v_fma_f16 v56, v35, 2.0, -v51
	;; [unrolled: 1-line block ×4, first 2 shown]
	v_fma_f16 v60, v30, s8, v20
	v_fma_f16 v36, v26, 2.0, -v61
	v_fma_f16 v26, v57, s8, v23
	v_fma_f16 v30, v45, s8, v44
	v_fma_f16 v35, v43, 2.0, -v60
	v_sub_f16_e32 v20, v29, v55
	v_sub_f16_e32 v22, v54, v56
	v_fma_f16 v43, v45, s8, v26
	v_fma_f16 v45, v57, s9, v30
	v_fma_f16 v24, v29, 2.0, -v20
	v_fma_f16 v29, v54, 2.0, -v22
	;; [unrolled: 1-line block ×4, first 2 shown]
	v_sub_f16_e32 v44, v21, v51
	v_add_f16_e32 v25, v42, v25
	v_fma_f16 v26, v48, s9, v50
	v_fma_f16 v47, v31, s9, v27
	v_fma_f16 v21, v21, 2.0, -v44
	v_fma_f16 v42, v42, 2.0, -v25
	v_fma_f16 v55, v31, s8, v26
	v_fma_f16 v56, v48, s9, v47
	v_sub_f16_e32 v26, v12, v24
	v_sub_f16_e32 v47, v13, v29
	v_fma_f16 v24, v23, s10, v28
	v_fma_f16 v29, v30, s10, v32
	v_fma_f16 v50, v50, 2.0, -v55
	v_fma_f16 v31, v27, 2.0, -v56
	v_fma_f16 v27, v30, s11, v24
	v_fma_f16 v48, v23, s16, v29
	v_fma_f16 v23, v21, s8, v33
	v_fma_f16 v24, v42, s8, v34
	v_fma_f16 v30, v42, s8, v23
	v_fma_f16 v49, v21, s9, v24
	v_fma_f16 v21, v50, s11, v35
	v_fma_f16 v23, v31, s11, v36
	v_add_f16_e32 v54, v15, v20
	v_fma_f16 v20, v43, s16, v46
	v_fma_f16 v31, v31, s10, v21
	;; [unrolled: 1-line block ×3, first 2 shown]
	v_sub_f16_e32 v53, v14, v22
	v_fma_f16 v22, v45, s16, v52
	v_fma_f16 v21, v45, s10, v20
	v_fma_f16 v20, v44, s9, v58
	v_fma_f16 v23, v25, s9, v59
	v_fma_f16 v42, v43, s17, v22
	v_fma_f16 v22, v25, s8, v20
	v_fma_f16 v44, v44, s9, v23
	v_fma_f16 v23, v55, s17, v60
	v_fma_f16 v25, v56, s17, v61
	v_fma_f16 v23, v56, s11, v23
	v_fma_f16 v43, v55, s16, v25
	v_fma_f16 v29, v46, 2.0, -v21
	v_fma_f16 v46, v52, 2.0, -v42
	;; [unrolled: 1-line block ×6, first 2 shown]
	s_and_saveexec_b64 s[8:9], s[2:3]
	s_cbranch_execz .LBB0_11
; %bb.10:
	v_mul_u32_u24_e32 v50, 0xd0, v39
	v_fma_f16 v28, v28, 2.0, -v27
	v_fma_f16 v32, v32, 2.0, -v48
	;; [unrolled: 1-line block ×4, first 2 shown]
	v_or_b32_e32 v50, v50, v40
	v_fma_f16 v35, v35, 2.0, -v31
	v_fma_f16 v36, v36, 2.0, -v51
	v_fma_f16 v33, v33, 2.0, -v30
	v_fma_f16 v34, v34, 2.0, -v49
	v_lshlrev_b32_e32 v50, 2, v50
	v_pack_b32_f16 v12, v12, v13
	v_pack_b32_f16 v13, v28, v32
	v_fma_f16 v14, v14, 2.0, -v53
	v_fma_f16 v15, v15, 2.0, -v54
	ds_write2_b32 v50, v12, v13 offset1:13
	v_pack_b32_f16 v12, v33, v34
	v_pack_b32_f16 v13, v35, v36
	s_mov_b32 s10, 0x5040100
	ds_write2_b32 v50, v12, v13 offset0:26 offset1:39
	v_pack_b32_f16 v12, v14, v15
	v_perm_b32 v13, v46, v29, s10
	ds_write2_b32 v50, v12, v13 offset0:52 offset1:65
	v_perm_b32 v12, v20, v24, s10
	v_perm_b32 v13, v45, v25, s10
	ds_write2_b32 v50, v12, v13 offset0:78 offset1:91
	v_perm_b32 v12, v47, v26, s10
	;; [unrolled: 3-line block ×5, first 2 shown]
	v_perm_b32 v13, v43, v23, s10
	ds_write2_b32 v50, v12, v13 offset0:182 offset1:195
.LBB0_11:
	s_or_b64 exec, exec, s[8:9]
	v_lshlrev_b32_e32 v12, 4, v38
	s_load_dwordx4 s[8:11], s[4:5], 0x0
	s_waitcnt lgkmcnt(0)
	s_barrier
	global_load_dwordx4 v[12:15], v12, s[14:15] offset:780
	v_add_u32_e32 v50, 0x600, v37
	ds_read2_b32 v[32:33], v37 offset1:208
	ds_read_b32 v28, v37 offset:3328
	ds_read2_b32 v[34:35], v50 offset0:32 offset1:240
	s_movk_i32 s4, 0x3b9c
	s_mov_b32 s15, 0xbb9c
	s_waitcnt lgkmcnt(2)
	v_lshrrev_b32_e32 v52, 16, v33
	s_waitcnt lgkmcnt(1)
	v_lshrrev_b32_e32 v55, 16, v28
	;; [unrolled: 2-line block ×3, first 2 shown]
	v_lshrrev_b32_e32 v57, 16, v35
	v_lshrrev_b32_e32 v36, 16, v32
	s_movk_i32 s5, 0x38b4
	s_mov_b32 s16, 0xb8b4
	s_movk_i32 s14, 0x34f2
	s_waitcnt vmcnt(0)
	v_mul_f16_sdwa v58, v52, v12 dst_sel:DWORD dst_unused:UNUSED_PAD src0_sel:DWORD src1_sel:WORD_1
	v_mul_f16_sdwa v60, v56, v13 dst_sel:DWORD dst_unused:UNUSED_PAD src0_sel:DWORD src1_sel:WORD_1
	;; [unrolled: 1-line block ×8, first 2 shown]
	v_fma_f16 v33, v33, v12, -v58
	v_fma_f16 v34, v34, v13, -v60
	v_fma_f16 v35, v35, v14, -v62
	v_fma_f16 v28, v28, v15, -v64
	v_fma_f16 v52, v52, v12, v59
	v_fma_f16 v56, v56, v13, v61
	;; [unrolled: 1-line block ×4, first 2 shown]
	v_add_f16_e32 v58, v32, v33
	v_add_f16_e32 v59, v34, v35
	;; [unrolled: 1-line block ×3, first 2 shown]
	v_sub_f16_e32 v60, v52, v55
	v_sub_f16_e32 v61, v56, v57
	;; [unrolled: 1-line block ×6, first 2 shown]
	v_add_f16_e32 v67, v36, v52
	v_add_f16_e32 v68, v56, v57
	v_sub_f16_e32 v69, v33, v28
	v_sub_f16_e32 v70, v34, v35
	;; [unrolled: 1-line block ×4, first 2 shown]
	v_add_f16_e32 v72, v52, v55
	v_sub_f16_e32 v52, v56, v52
	v_sub_f16_e32 v73, v57, v55
	v_add_f16_e32 v34, v58, v34
	v_fma_f16 v58, v59, -0.5, v32
	v_fma_f16 v32, v64, -0.5, v32
	v_add_f16_e32 v59, v62, v63
	v_add_f16_e32 v62, v65, v66
	;; [unrolled: 1-line block ×3, first 2 shown]
	v_fma_f16 v63, v68, -0.5, v36
	v_add_f16_e32 v64, v33, v71
	v_fma_f16 v65, v72, -0.5, v36
	v_add_f16_e32 v66, v52, v73
	v_add_f16_e32 v33, v34, v35
	v_fma_f16 v34, v60, s4, v58
	v_fma_f16 v36, v60, s15, v58
	;; [unrolled: 1-line block ×4, first 2 shown]
	v_add_f16_e32 v56, v56, v57
	v_fma_f16 v57, v69, s15, v63
	v_add_f16_e32 v35, v33, v28
	v_fma_f16 v28, v61, s5, v34
	v_fma_f16 v33, v61, s16, v36
	;; [unrolled: 1-line block ×12, first 2 shown]
	v_add_f16_e32 v56, v56, v55
	v_fma_f16 v55, v70, s5, v58
	v_fma_f16 v57, v69, s16, v63
	;; [unrolled: 1-line block ×7, first 2 shown]
	v_pack_b32_f16 v32, v35, v56
	v_pack_b32_f16 v59, v36, v58
	ds_write2_b32 v37, v32, v59 offset1:208
	v_pack_b32_f16 v32, v33, v57
	v_pack_b32_f16 v59, v34, v55
	ds_write2_b32 v50, v32, v59 offset0:32 offset1:240
	v_pack_b32_f16 v32, v28, v52
	ds_write_b32 v37, v32 offset:3328
	s_waitcnt lgkmcnt(0)
	s_barrier
	s_and_saveexec_b64 s[4:5], s[0:1]
	s_cbranch_execz .LBB0_13
; %bb.12:
	v_mov_b32_e32 v32, s7
	v_add_co_u32_e32 v50, vcc, s6, v37
	v_addc_co_u32_e32 v32, vcc, 0, v32, vcc
	v_add_co_u32_e32 v59, vcc, 0x1040, v50
	v_addc_co_u32_e32 v60, vcc, 0, v32, vcc
	;; [unrolled: 2-line block ×3, first 2 shown]
	global_load_dword v32, v[61:62], off offset:64
	global_load_dword v50, v[59:60], off offset:320
	;; [unrolled: 1-line block ×11, first 2 shown]
	ds_read_b32 v61, v37
	global_load_dword v82, v[59:60], off offset:3520
	global_load_dword v83, v[59:60], off offset:3840
	v_add_u32_e32 v78, 0x200, v37
	v_add_u32_e32 v79, 0x400, v37
	;; [unrolled: 1-line block ×3, first 2 shown]
	s_waitcnt lgkmcnt(0)
	v_lshrrev_b32_e32 v59, 16, v61
	v_add_u32_e32 v81, 0xa00, v37
	s_waitcnt vmcnt(12)
	v_mul_f16_sdwa v60, v59, v32 dst_sel:DWORD dst_unused:UNUSED_PAD src0_sel:DWORD src1_sel:WORD_1
	v_mul_f16_sdwa v62, v61, v32 dst_sel:DWORD dst_unused:UNUSED_PAD src0_sel:DWORD src1_sel:WORD_1
	v_fma_f16 v60, v61, v32, -v60
	v_fma_f16 v32, v59, v32, v62
	v_pack_b32_f16 v32, v60, v32
	ds_write_b32 v37, v32
	ds_read2_b32 v[59:60], v37 offset0:80 offset1:160
	ds_read2_b32 v[61:62], v78 offset0:112 offset1:192
	ds_read2_b32 v[63:64], v79 offset0:144 offset1:224
	ds_read2_b32 v[65:66], v80 offset0:48 offset1:128
	ds_read2_b32 v[67:68], v81 offset0:80 offset1:160
	s_waitcnt lgkmcnt(4)
	v_lshrrev_b32_e32 v32, 16, v59
	s_waitcnt vmcnt(11)
	v_mul_f16_sdwa v84, v59, v50 dst_sel:DWORD dst_unused:UNUSED_PAD src0_sel:DWORD src1_sel:WORD_1
	v_lshrrev_b32_e32 v85, 16, v60
	s_waitcnt vmcnt(10)
	v_mul_f16_sdwa v86, v60, v69 dst_sel:DWORD dst_unused:UNUSED_PAD src0_sel:DWORD src1_sel:WORD_1
	s_waitcnt lgkmcnt(3)
	v_lshrrev_b32_e32 v87, 16, v61
	s_waitcnt vmcnt(9)
	v_mul_f16_sdwa v88, v61, v70 dst_sel:DWORD dst_unused:UNUSED_PAD src0_sel:DWORD src1_sel:WORD_1
	v_lshrrev_b32_e32 v89, 16, v62
	s_waitcnt vmcnt(8)
	v_mul_f16_sdwa v90, v62, v71 dst_sel:DWORD dst_unused:UNUSED_PAD src0_sel:DWORD src1_sel:WORD_1
	;; [unrolled: 7-line block ×3, first 2 shown]
	s_waitcnt lgkmcnt(1)
	v_lshrrev_b32_e32 v95, 16, v65
	s_waitcnt vmcnt(5)
	v_mul_f16_sdwa v96, v65, v74 dst_sel:DWORD dst_unused:UNUSED_PAD src0_sel:DWORD src1_sel:WORD_1
	v_lshrrev_b32_e32 v97, 16, v66
	v_mul_f16_sdwa v100, v32, v50 dst_sel:DWORD dst_unused:UNUSED_PAD src0_sel:DWORD src1_sel:WORD_1
	v_fma_f16 v32, v32, v50, v84
	v_mul_f16_sdwa v84, v85, v69 dst_sel:DWORD dst_unused:UNUSED_PAD src0_sel:DWORD src1_sel:WORD_1
	s_waitcnt vmcnt(4)
	v_mul_f16_sdwa v98, v66, v75 dst_sel:DWORD dst_unused:UNUSED_PAD src0_sel:DWORD src1_sel:WORD_1
	v_fma_f16 v85, v85, v69, v86
	v_mul_f16_sdwa v86, v87, v70 dst_sel:DWORD dst_unused:UNUSED_PAD src0_sel:DWORD src1_sel:WORD_1
	v_fma_f16 v87, v87, v70, v88
	v_mul_f16_sdwa v88, v89, v71 dst_sel:DWORD dst_unused:UNUSED_PAD src0_sel:DWORD src1_sel:WORD_1
	v_fma_f16 v89, v89, v71, v90
	v_mul_f16_sdwa v90, v91, v72 dst_sel:DWORD dst_unused:UNUSED_PAD src0_sel:DWORD src1_sel:WORD_1
	v_fma_f16 v91, v91, v72, v92
	v_mul_f16_sdwa v92, v93, v73 dst_sel:DWORD dst_unused:UNUSED_PAD src0_sel:DWORD src1_sel:WORD_1
	v_fma_f16 v93, v93, v73, v94
	v_mul_f16_sdwa v94, v95, v74 dst_sel:DWORD dst_unused:UNUSED_PAD src0_sel:DWORD src1_sel:WORD_1
	v_fma_f16 v95, v95, v74, v96
	v_mul_f16_sdwa v96, v97, v75 dst_sel:DWORD dst_unused:UNUSED_PAD src0_sel:DWORD src1_sel:WORD_1
	v_fma_f16 v50, v59, v50, -v100
	v_fma_f16 v59, v60, v69, -v84
	s_waitcnt lgkmcnt(0)
	v_lshrrev_b32_e32 v99, 16, v67
	v_fma_f16 v97, v97, v75, v98
	v_fma_f16 v60, v61, v70, -v86
	v_fma_f16 v61, v62, v71, -v88
	;; [unrolled: 1-line block ×6, first 2 shown]
	v_pack_b32_f16 v32, v50, v32
	v_pack_b32_f16 v50, v59, v85
	;; [unrolled: 1-line block ×8, first 2 shown]
	ds_write2_b32 v37, v32, v50 offset0:80 offset1:160
	ds_write2_b32 v78, v59, v60 offset0:112 offset1:192
	ds_write2_b32 v79, v61, v62 offset0:144 offset1:224
	ds_write2_b32 v80, v63, v64 offset0:48 offset1:128
	s_waitcnt vmcnt(3)
	v_mul_f16_sdwa v32, v99, v76 dst_sel:DWORD dst_unused:UNUSED_PAD src0_sel:DWORD src1_sel:WORD_1
	v_mul_f16_sdwa v50, v67, v76 dst_sel:DWORD dst_unused:UNUSED_PAD src0_sel:DWORD src1_sel:WORD_1
	v_fma_f16 v32, v67, v76, -v32
	v_fma_f16 v50, v99, v76, v50
	v_pack_b32_f16 v32, v32, v50
	v_lshrrev_b32_e32 v50, 16, v68
	s_waitcnt vmcnt(2)
	v_mul_f16_sdwa v59, v50, v77 dst_sel:DWORD dst_unused:UNUSED_PAD src0_sel:DWORD src1_sel:WORD_1
	v_add_u32_e32 v62, 0xc00, v37
	v_fma_f16 v61, v68, v77, -v59
	ds_read2_b32 v[59:60], v62 offset0:112 offset1:192
	v_mul_f16_sdwa v63, v68, v77 dst_sel:DWORD dst_unused:UNUSED_PAD src0_sel:DWORD src1_sel:WORD_1
	v_fma_f16 v50, v50, v77, v63
	v_pack_b32_f16 v50, v61, v50
	ds_write2_b32 v81, v32, v50 offset0:80 offset1:160
	s_waitcnt lgkmcnt(1)
	v_lshrrev_b32_e32 v32, 16, v59
	s_waitcnt vmcnt(1)
	v_mul_f16_sdwa v50, v32, v82 dst_sel:DWORD dst_unused:UNUSED_PAD src0_sel:DWORD src1_sel:WORD_1
	v_fma_f16 v50, v59, v82, -v50
	v_mul_f16_sdwa v59, v59, v82 dst_sel:DWORD dst_unused:UNUSED_PAD src0_sel:DWORD src1_sel:WORD_1
	v_fma_f16 v32, v32, v82, v59
	v_pack_b32_f16 v32, v50, v32
	v_lshrrev_b32_e32 v50, 16, v60
	s_waitcnt vmcnt(0)
	v_mul_f16_sdwa v59, v50, v83 dst_sel:DWORD dst_unused:UNUSED_PAD src0_sel:DWORD src1_sel:WORD_1
	v_fma_f16 v59, v60, v83, -v59
	v_mul_f16_sdwa v60, v60, v83 dst_sel:DWORD dst_unused:UNUSED_PAD src0_sel:DWORD src1_sel:WORD_1
	v_fma_f16 v50, v50, v83, v60
	v_pack_b32_f16 v50, v59, v50
	ds_write2_b32 v62, v32, v50 offset0:112 offset1:192
.LBB0_13:
	s_or_b64 exec, exec, s[4:5]
	s_waitcnt lgkmcnt(0)
	s_barrier
	s_and_saveexec_b64 s[4:5], s[0:1]
	s_cbranch_execz .LBB0_15
; %bb.14:
	v_add_u32_e32 v20, 0x400, v37
	ds_read2_b32 v[35:36], v37 offset1:80
	ds_read2_b32 v[33:34], v37 offset0:160 offset1:240
	ds_read2_b32 v[28:29], v20 offset0:64 offset1:144
	v_add_u32_e32 v20, 0x600, v37
	v_add_u32_e32 v26, 0x800, v37
	;; [unrolled: 1-line block ×3, first 2 shown]
	ds_read2_b32 v[24:25], v20 offset0:96 offset1:176
	ds_read2_b32 v[26:27], v26 offset0:128 offset1:208
	;; [unrolled: 1-line block ×3, first 2 shown]
	ds_read_b32 v53, v37 offset:3840
	s_waitcnt lgkmcnt(6)
	v_lshrrev_b32_e32 v56, 16, v35
	v_lshrrev_b32_e32 v58, 16, v36
	s_waitcnt lgkmcnt(5)
	v_lshrrev_b32_e32 v57, 16, v33
	v_lshrrev_b32_e32 v55, 16, v34
	;; [unrolled: 3-line block ×6, first 2 shown]
	s_waitcnt lgkmcnt(0)
	v_lshrrev_b32_e32 v54, 16, v53
.LBB0_15:
	s_or_b64 exec, exec, s[4:5]
	v_add_f16_e32 v32, v36, v35
	v_add_f16_e32 v50, v58, v56
	;; [unrolled: 1-line block ×24, first 2 shown]
	v_sub_f16_e32 v36, v36, v53
	v_sub_f16_e32 v53, v58, v54
	v_add_f16_e32 v50, v54, v50
	v_add_f16_e32 v60, v54, v58
	v_mul_f16_e32 v54, 0xb770, v53
	v_mul_f16_e32 v63, 0xba95, v53
	s_movk_i32 s16, 0x388b
	v_mul_f16_e32 v67, 0xbbf1, v53
	s_movk_i32 s5, 0x2fb7
	v_mul_f16_e32 v71, 0xbb7b, v53
	s_mov_b32 s22, 0xb5ac
	v_mul_f16_e32 v75, 0xb94e, v53
	s_mov_b32 s25, 0xb9fd
	;; [unrolled: 2-line block ×3, first 2 shown]
	s_mov_b32 s18, 0xb770
	v_fma_f16 v58, v59, s19, v54
	v_mul_f16_e32 v61, 0x3b15, v60
	s_movk_i32 s20, 0x3770
	v_fma_f16 v54, v59, s19, -v54
	s_mov_b32 s15, 0xba95
	v_fma_f16 v64, v59, s16, v63
	v_mul_f16_e32 v65, 0x388b, v60
	s_movk_i32 s17, 0x3a95
	v_fma_f16 v63, v59, s16, -v63
	;; [unrolled: 5-line block ×6, first 2 shown]
	v_add_f16_e32 v58, v35, v58
	v_fma_f16 v62, v36, s20, v61
	v_add_f16_e32 v54, v35, v54
	v_fma_f16 v61, v36, s18, v61
	;; [unrolled: 2-line block ×12, first 2 shown]
	v_add_f16_e32 v53, v31, v33
	v_sub_f16_e32 v31, v33, v31
	v_sub_f16_e32 v33, v57, v51
	v_add_f16_e32 v62, v56, v62
	v_add_f16_e32 v61, v56, v61
	;; [unrolled: 1-line block ×13, first 2 shown]
	v_mul_f16_e32 v51, 0xba95, v33
	v_fma_f16 v57, v53, s16, v51
	v_add_f16_e32 v57, v57, v58
	v_mul_f16_e32 v58, 0x388b, v56
	v_fma_f16 v51, v53, s16, -v51
	v_fma_f16 v59, v31, s17, v58
	v_add_f16_e32 v51, v51, v54
	v_fma_f16 v54, v31, s15, v58
	v_mul_f16_e32 v58, 0xbb7b, v33
	v_fma_f16 v60, v53, s22, v58
	v_fma_f16 v58, v53, s22, -v58
	v_add_f16_e32 v54, v54, v61
	v_mul_f16_e32 v61, 0xb5ac, v56
	v_add_f16_e32 v58, v58, v63
	v_mul_f16_e32 v63, 0xb3a8, v33
	v_add_f16_e32 v59, v59, v62
	v_add_f16_e32 v60, v60, v64
	v_fma_f16 v62, v31, s23, v61
	v_fma_f16 v61, v31, s21, v61
	v_fma_f16 v64, v53, s28, v63
	v_fma_f16 v63, v53, s28, -v63
	v_add_f16_e32 v61, v61, v65
	v_mul_f16_e32 v65, 0xbbc4, v56
	v_add_f16_e32 v63, v63, v67
	v_mul_f16_e32 v67, 0x394e, v33
	v_add_f16_e32 v62, v62, v66
	v_add_f16_e32 v64, v64, v68
	v_fma_f16 v66, v31, s29, v65
	v_fma_f16 v65, v31, s27, v65
	;; [unrolled: 10-line block ×3, first 2 shown]
	v_fma_f16 v72, v53, s5, v71
	v_fma_f16 v71, v53, s5, -v71
	v_mul_f16_e32 v33, 0x3770, v33
	v_add_f16_e32 v69, v69, v73
	v_mul_f16_e32 v73, 0x2fb7, v56
	v_add_f16_e32 v71, v71, v75
	v_fma_f16 v75, v53, s19, v33
	v_mul_f16_e32 v56, 0x3b15, v56
	v_fma_f16 v33, v53, s19, -v33
	v_add_f16_e32 v70, v70, v74
	v_add_f16_e32 v72, v72, v76
	v_fma_f16 v74, v31, s4, v73
	v_fma_f16 v73, v31, s14, v73
	;; [unrolled: 1-line block ×3, first 2 shown]
	v_add_f16_e32 v33, v33, v35
	v_fma_f16 v31, v31, s20, v56
	v_add_f16_e32 v35, v30, v34
	v_sub_f16_e32 v30, v34, v30
	v_sub_f16_e32 v34, v55, v49
	v_add_f16_e32 v31, v31, v36
	v_add_f16_e32 v36, v49, v55
	v_mul_f16_e32 v49, 0xbbf1, v34
	v_fma_f16 v53, v35, s5, v49
	v_mul_f16_e32 v55, 0x2fb7, v36
	v_fma_f16 v49, v35, s5, -v49
	v_add_f16_e32 v49, v49, v51
	v_fma_f16 v51, v30, s4, v55
	v_add_f16_e32 v51, v51, v54
	v_mul_f16_e32 v54, 0xb3a8, v34
	v_add_f16_e32 v53, v53, v57
	v_fma_f16 v56, v30, s14, v55
	v_fma_f16 v55, v35, s28, v54
	v_mul_f16_e32 v57, 0xbbc4, v36
	v_fma_f16 v54, v35, s28, -v54
	v_add_f16_e32 v56, v56, v59
	v_fma_f16 v59, v30, s29, v57
	v_add_f16_e32 v54, v54, v58
	v_fma_f16 v57, v30, s27, v57
	v_mul_f16_e32 v58, 0x3b7b, v34
	v_add_f16_e32 v55, v55, v60
	v_add_f16_e32 v57, v57, v61
	v_fma_f16 v60, v35, s22, v58
	v_mul_f16_e32 v61, 0xb5ac, v36
	v_fma_f16 v58, v35, s22, -v58
	v_add_f16_e32 v59, v59, v62
	v_fma_f16 v62, v30, s21, v61
	v_add_f16_e32 v58, v58, v63
	v_fma_f16 v61, v30, s23, v61
	v_mul_f16_e32 v63, 0x3770, v34
	v_add_f16_e32 v60, v60, v64
	v_add_f16_e32 v61, v61, v65
	;; [unrolled: 10-line block ×3, first 2 shown]
	v_fma_f16 v68, v35, s16, v67
	v_mul_f16_e32 v69, 0x388b, v36
	v_mul_f16_e32 v36, 0xb9fd, v36
	v_add_f16_e32 v66, v66, v70
	v_add_f16_e32 v68, v68, v72
	v_fma_f16 v70, v30, s17, v69
	v_fma_f16 v67, v35, s16, -v67
	v_fma_f16 v69, v30, s15, v69
	v_mul_f16_e32 v34, 0xb94e, v34
	v_fma_f16 v72, v30, s26, v36
	v_fma_f16 v30, v30, s24, v36
	v_add_f16_e32 v67, v67, v71
	v_fma_f16 v71, v35, s25, v34
	v_fma_f16 v34, v35, s25, -v34
	v_add_f16_e32 v30, v30, v31
	v_add_f16_e32 v31, v27, v28
	v_sub_f16_e32 v27, v28, v27
	v_sub_f16_e32 v28, v52, v48
	v_add_f16_e32 v33, v34, v33
	v_add_f16_e32 v34, v48, v52
	v_mul_f16_e32 v35, 0xbb7b, v28
	v_fma_f16 v36, v31, s22, v35
	v_mul_f16_e32 v48, 0xb5ac, v34
	v_fma_f16 v35, v31, s22, -v35
	v_fma_f16 v52, v27, s23, v48
	v_add_f16_e32 v35, v35, v49
	v_fma_f16 v48, v27, s21, v48
	v_mul_f16_e32 v49, 0x394e, v28
	v_add_f16_e32 v36, v36, v53
	v_add_f16_e32 v48, v48, v51
	v_fma_f16 v51, v31, s25, v49
	v_mul_f16_e32 v53, 0xb9fd, v34
	v_fma_f16 v49, v31, s25, -v49
	v_add_f16_e32 v51, v51, v55
	v_fma_f16 v55, v27, s24, v53
	v_add_f16_e32 v49, v49, v54
	v_fma_f16 v53, v27, s26, v53
	v_mul_f16_e32 v54, 0x3770, v28
	v_add_f16_e32 v52, v52, v56
	v_add_f16_e32 v53, v53, v57
	v_fma_f16 v56, v31, s19, v54
	v_mul_f16_e32 v57, 0x3b15, v34
	v_fma_f16 v54, v31, s19, -v54
	v_add_f16_e32 v55, v55, v59
	;; [unrolled: 10-line block ×3, first 2 shown]
	v_fma_f16 v62, v27, s14, v61
	v_add_f16_e32 v58, v58, v63
	v_fma_f16 v61, v27, s4, v61
	v_mul_f16_e32 v63, 0x33a8, v28
	v_add_f16_e32 v60, v60, v64
	v_add_f16_e32 v61, v61, v65
	v_fma_f16 v64, v31, s28, v63
	v_mul_f16_e32 v65, 0xbbc4, v34
	v_mul_f16_e32 v34, 0x388b, v34
	v_add_f16_e32 v62, v62, v66
	v_add_f16_e32 v64, v64, v68
	v_fma_f16 v66, v27, s27, v65
	v_fma_f16 v63, v31, s28, -v63
	v_fma_f16 v65, v27, s29, v65
	v_mul_f16_e32 v28, 0x3a95, v28
	v_fma_f16 v68, v27, s15, v34
	v_fma_f16 v27, v27, s17, v34
	v_add_f16_e32 v63, v63, v67
	v_fma_f16 v67, v31, s16, v28
	v_fma_f16 v28, v31, s16, -v28
	v_add_f16_e32 v27, v27, v30
	v_add_f16_e32 v30, v26, v29
	v_sub_f16_e32 v26, v29, v26
	v_sub_f16_e32 v29, v46, v47
	v_add_f16_e32 v28, v28, v33
	v_mul_f16_e32 v33, 0xb94e, v29
	v_add_f16_e32 v31, v47, v46
	v_fma_f16 v34, v30, s25, v33
	v_add_f16_e32 v34, v34, v36
	v_mul_f16_e32 v36, 0xb9fd, v31
	v_fma_f16 v33, v30, s25, -v33
	v_add_f16_e32 v35, v33, v35
	v_fma_f16 v33, v26, s24, v36
	v_add_f16_e32 v47, v33, v48
	v_mul_f16_e32 v33, 0x3bf1, v29
	v_fma_f16 v46, v26, s26, v36
	v_fma_f16 v36, v30, s5, v33
	v_add_f16_e32 v48, v36, v51
	v_mul_f16_e32 v36, 0x2fb7, v31
	v_fma_f16 v33, v30, s5, -v33
	v_add_f16_e32 v49, v33, v49
	v_fma_f16 v33, v26, s14, v36
	v_add_f16_e32 v53, v33, v53
	v_mul_f16_e32 v33, 0xba95, v29
	v_fma_f16 v51, v26, s4, v36
	v_fma_f16 v36, v30, s16, v33
	v_add_f16_e32 v51, v51, v55
	v_add_f16_e32 v55, v36, v56
	v_mul_f16_e32 v36, 0x388b, v31
	v_fma_f16 v33, v30, s16, -v33
	v_add_f16_e32 v54, v33, v54
	v_fma_f16 v33, v26, s15, v36
	v_add_f16_e32 v57, v33, v57
	v_mul_f16_e32 v33, 0x33a8, v29
	v_add_f16_e32 v46, v46, v52
	v_fma_f16 v52, v26, s17, v36
	v_fma_f16 v36, v30, s28, v33
	v_add_f16_e32 v56, v52, v59
	v_add_f16_e32 v59, v36, v60
	v_mul_f16_e32 v36, 0xbbc4, v31
	v_fma_f16 v33, v30, s28, -v33
	v_add_f16_e32 v58, v33, v58
	v_fma_f16 v33, v26, s29, v36
	v_add_f16_e32 v61, v33, v61
	v_mul_f16_e32 v33, 0x3770, v29
	v_add_f16_e32 v73, v73, v77
	v_fma_f16 v52, v26, s27, v36
	v_fma_f16 v36, v30, s19, v33
	v_add_f16_e32 v74, v74, v78
	v_add_f16_e32 v75, v75, v79
	;; [unrolled: 1-line block ×5, first 2 shown]
	v_mul_f16_e32 v36, 0x3b15, v31
	v_fma_f16 v33, v30, s19, -v33
	v_add_f16_e32 v76, v76, v80
	v_add_f16_e32 v70, v70, v74
	;; [unrolled: 1-line block ×5, first 2 shown]
	v_fma_f16 v33, v26, s20, v36
	v_mul_f16_e32 v29, 0xbb7b, v29
	v_sub_f16_e32 v73, v20, v45
	v_add_f16_e32 v72, v72, v76
	v_add_f16_e32 v66, v66, v70
	;; [unrolled: 1-line block ×3, first 2 shown]
	v_fma_f16 v52, v26, s18, v36
	v_add_f16_e32 v65, v33, v65
	v_fma_f16 v33, v30, s22, v29
	v_mul_f16_e32 v31, 0xb5ac, v31
	v_add_f16_e32 v70, v25, v24
	v_add_f16_e32 v71, v45, v20
	v_mul_f16_e32 v20, 0xb3a8, v73
	v_add_f16_e32 v68, v68, v72
	v_add_f16_e32 v64, v52, v66
	;; [unrolled: 1-line block ×3, first 2 shown]
	v_fma_f16 v33, v26, s23, v31
	v_sub_f16_e32 v72, v24, v25
	v_fma_f16 v24, v70, s28, v20
	v_add_f16_e32 v67, v33, v68
	v_add_f16_e32 v33, v24, v34
	v_mul_f16_e32 v24, 0xbbc4, v71
	v_fma_f16 v26, v26, s21, v31
	v_fma_f16 v25, v72, s29, v24
	v_add_f16_e32 v69, v26, v27
	v_add_f16_e32 v36, v25, v46
	v_fma_f16 v24, v72, s27, v24
	v_mul_f16_e32 v25, 0x3770, v73
	v_mul_f16_e32 v26, 0x3b15, v71
	v_add_f16_e32 v46, v24, v47
	v_fma_f16 v24, v70, s19, v25
	v_fma_f16 v27, v72, s18, v26
	v_fma_f16 v25, v70, s19, -v25
	v_fma_f16 v29, v30, s22, -v29
	v_add_f16_e32 v52, v27, v51
	v_add_f16_e32 v31, v25, v49
	v_fma_f16 v25, v72, s20, v26
	v_mul_f16_e32 v26, 0xb94e, v73
	v_mul_f16_e32 v27, 0xb9fd, v71
	v_add_f16_e32 v68, v29, v28
	v_add_f16_e32 v53, v25, v53
	v_fma_f16 v25, v70, s25, v26
	v_fma_f16 v28, v72, s26, v27
	v_fma_f16 v26, v70, s25, -v26
	v_fma_f16 v20, v70, s28, -v20
	v_add_f16_e32 v47, v28, v56
	v_add_f16_e32 v30, v26, v54
	v_fma_f16 v26, v72, s24, v27
	v_mul_f16_e32 v27, 0x3a95, v73
	v_mul_f16_e32 v28, 0x388b, v71
	;; [unrolled: 1-line block ×3, first 2 shown]
	v_add_f16_e32 v20, v20, v35
	v_add_f16_e32 v25, v25, v55
	v_add_f16_e32 v55, v26, v57
	v_fma_f16 v26, v70, s16, v27
	v_fma_f16 v29, v72, s15, v28
	v_fma_f16 v27, v70, s16, -v27
	v_fma_f16 v35, v72, s23, v34
	v_add_f16_e32 v45, v29, v60
	v_add_f16_e32 v29, v27, v58
	v_fma_f16 v27, v72, s17, v28
	v_mul_f16_e32 v28, 0xbb7b, v73
	v_add_f16_e32 v49, v35, v64
	v_fma_f16 v34, v72, s21, v34
	v_mul_f16_e32 v35, 0x3bf1, v73
	v_mul_f16_e32 v54, 0x2fb7, v71
	v_add_f16_e32 v24, v24, v48
	v_add_f16_e32 v51, v27, v61
	v_fma_f16 v27, v70, s22, v28
	v_fma_f16 v28, v70, s22, -v28
	v_add_f16_e32 v48, v34, v65
	v_fma_f16 v34, v70, s5, v35
	v_fma_f16 v56, v72, s4, v54
	v_fma_f16 v35, v70, s5, -v35
	v_fma_f16 v54, v72, s14, v54
	v_add_f16_e32 v26, v26, v59
	v_add_f16_e32 v27, v27, v62
	;; [unrolled: 1-line block ×7, first 2 shown]
	s_barrier
	s_and_saveexec_b64 s[4:5], s[0:1]
	s_cbranch_execz .LBB0_17
; %bb.16:
	s_mov_b32 s14, 0x5040100
	v_lshlrev_b32_e32 v41, 2, v41
	v_perm_b32 v57, v36, v33, s14
	v_perm_b32 v58, v50, v32, s14
	ds_write2_b32 v41, v58, v57 offset1:1
	v_perm_b32 v57, v47, v25, s14
	v_perm_b32 v58, v52, v24, s14
	ds_write2_b32 v41, v58, v57 offset0:2 offset1:3
	v_perm_b32 v57, v49, v27, s14
	v_perm_b32 v58, v45, v26, s14
	ds_write2_b32 v41, v58, v57 offset0:4 offset1:5
	;; [unrolled: 3-line block ×5, first 2 shown]
	v_perm_b32 v57, v46, v20, s14
	ds_write_b32 v41, v57 offset:48
.LBB0_17:
	s_or_b64 exec, exec, s[4:5]
	s_waitcnt lgkmcnt(0)
	s_barrier
	s_and_saveexec_b64 s[4:5], s[2:3]
	s_cbranch_execz .LBB0_19
; %bb.18:
	v_add_u32_e32 v20, 0x400, v37
	ds_read2_b32 v[32:33], v37 offset1:65
	ds_read2_b32 v[24:25], v37 offset0:130 offset1:195
	ds_read2_b32 v[26:27], v20 offset0:4 offset1:69
	;; [unrolled: 1-line block ×3, first 2 shown]
	v_add_u32_e32 v20, 0x800, v37
	v_add_u32_e32 v22, 0xc00, v37
	ds_read2_b32 v[28:29], v20 offset0:8 offset1:73
	ds_read2_b32 v[30:31], v20 offset0:138 offset1:203
	;; [unrolled: 1-line block ×4, first 2 shown]
	s_waitcnt lgkmcnt(7)
	v_lshrrev_b32_e32 v50, 16, v32
	v_lshrrev_b32_e32 v36, 16, v33
	s_waitcnt lgkmcnt(6)
	v_lshrrev_b32_e32 v52, 16, v24
	v_lshrrev_b32_e32 v47, 16, v25
	;; [unrolled: 3-line block ×8, first 2 shown]
.LBB0_19:
	s_or_b64 exec, exec, s[4:5]
	s_barrier
	s_and_saveexec_b64 s[4:5], s[2:3]
	s_cbranch_execz .LBB0_21
; %bb.20:
	v_mul_f16_sdwa v58, v5, v56 dst_sel:DWORD dst_unused:UNUSED_PAD src0_sel:WORD_1 src1_sel:DWORD
	v_fma_f16 v58, v5, v34, v58
	v_mul_f16_sdwa v59, v17, v44 dst_sel:DWORD dst_unused:UNUSED_PAD src0_sel:WORD_1 src1_sel:DWORD
	v_mul_f16_sdwa v34, v5, v34 dst_sel:DWORD dst_unused:UNUSED_PAD src0_sel:WORD_1 src1_sel:DWORD
	v_fma_f16 v59, v17, v22, v59
	v_fma_f16 v5, v5, v56, -v34
	v_mul_f16_sdwa v22, v17, v22 dst_sel:DWORD dst_unused:UNUSED_PAD src0_sel:WORD_1 src1_sel:DWORD
	v_mul_f16_sdwa v34, v7, v48 dst_sel:DWORD dst_unused:UNUSED_PAD src0_sel:WORD_1 src1_sel:DWORD
	;; [unrolled: 1-line block ×6, first 2 shown]
	v_fma_f16 v17, v17, v44, -v22
	v_mul_f16_sdwa v22, v1, v52 dst_sel:DWORD dst_unused:UNUSED_PAD src0_sel:WORD_1 src1_sel:DWORD
	v_fma_f16 v34, v7, v28, v34
	v_fma_f16 v62, v18, v23, v62
	;; [unrolled: 1-line block ×3, first 2 shown]
	v_mul_f16_sdwa v23, v18, v23 dst_sel:DWORD dst_unused:UNUSED_PAD src0_sel:WORD_1 src1_sel:DWORD
	v_mul_f16_sdwa v21, v16, v21 dst_sel:DWORD dst_unused:UNUSED_PAD src0_sel:WORD_1 src1_sel:DWORD
	v_mul_f16_sdwa v28, v7, v28 dst_sel:DWORD dst_unused:UNUSED_PAD src0_sel:WORD_1 src1_sel:DWORD
	v_fma_f16 v41, v1, v52, -v41
	v_fma_f16 v57, v9, v55, -v57
	v_fma_f16 v1, v1, v24, v22
	v_mul_f16_sdwa v22, v9, v55 dst_sel:DWORD dst_unused:UNUSED_PAD src0_sel:WORD_1 src1_sel:DWORD
	v_mul_f16_sdwa v24, v3, v26 dst_sel:DWORD dst_unused:UNUSED_PAD src0_sel:WORD_1 src1_sel:DWORD
	;; [unrolled: 1-line block ×8, first 2 shown]
	v_fma_f16 v18, v18, v43, -v23
	v_mul_f16_sdwa v23, v2, v47 dst_sel:DWORD dst_unused:UNUSED_PAD src0_sel:WORD_1 src1_sel:DWORD
	v_fma_f16 v16, v16, v42, -v21
	v_mul_f16_sdwa v21, v0, v36 dst_sel:DWORD dst_unused:UNUSED_PAD src0_sel:WORD_1 src1_sel:DWORD
	;; [unrolled: 2-line block ×3, first 2 shown]
	v_fma_f16 v9, v9, v30, v22
	v_fma_f16 v24, v3, v45, -v24
	v_mul_f16_sdwa v30, v11, v20 dst_sel:DWORD dst_unused:UNUSED_PAD src0_sel:WORD_1 src1_sel:DWORD
	v_fma_f16 v55, v2, v47, -v55
	v_fma_f16 v56, v10, v53, -v56
	v_fma_f16 v61, v6, v35, v61
	v_fma_f16 v64, v0, v36, -v64
	v_fma_f16 v65, v8, v51, -v65
	v_fma_f16 v66, v4, v27, v66
	v_mul_f16_sdwa v35, v6, v35 dst_sel:DWORD dst_unused:UNUSED_PAD src0_sel:WORD_1 src1_sel:DWORD
	v_fma_f16 v2, v2, v25, v23
	v_mul_f16_sdwa v23, v10, v53 dst_sel:DWORD dst_unused:UNUSED_PAD src0_sel:WORD_1 src1_sel:DWORD
	v_mul_f16_sdwa v27, v4, v27 dst_sel:DWORD dst_unused:UNUSED_PAD src0_sel:WORD_1 src1_sel:DWORD
	v_fma_f16 v0, v0, v33, v21
	v_mul_f16_sdwa v21, v8, v51 dst_sel:DWORD dst_unused:UNUSED_PAD src0_sel:WORD_1 src1_sel:DWORD
	v_fma_f16 v3, v3, v26, v28
	v_mul_f16_sdwa v26, v11, v46 dst_sel:DWORD dst_unused:UNUSED_PAD src0_sel:WORD_1 src1_sel:DWORD
	v_fma_f16 v30, v11, v46, -v30
	v_sub_f16_e32 v56, v55, v56
	v_sub_f16_e32 v62, v61, v62
	;; [unrolled: 1-line block ×4, first 2 shown]
	v_fma_f16 v6, v6, v54, -v35
	v_fma_f16 v10, v10, v31, v23
	v_fma_f16 v4, v4, v49, -v27
	v_fma_f16 v8, v8, v29, v21
	v_fma_f16 v11, v11, v20, v26
	v_sub_f16_e32 v57, v41, v57
	v_sub_f16_e32 v59, v58, v59
	;; [unrolled: 1-line block ×15, first 2 shown]
	v_add_f16_e32 v22, v17, v9
	v_add_f16_e32 v44, v30, v34
	s_movk_i32 s2, 0x39a8
	v_add_f16_e32 v23, v18, v10
	s_mov_b32 s3, 0xb9a8
	v_add_f16_e32 v21, v16, v8
	v_sub_f16_e32 v20, v7, v11
	v_fma_f16 v51, v65, 2.0, -v68
	v_fma_f16 v53, v56, 2.0, -v63
	v_fma_f16 v69, v63, s2, v68
	v_fma_f16 v26, v60, s2, v20
	v_fma_f16 v35, v41, 2.0, -v57
	v_fma_f16 v5, v5, 2.0, -v17
	;; [unrolled: 1-line block ×12, first 2 shown]
	v_fma_f16 v54, v53, s3, v51
	v_fma_f16 v10, v10, 2.0, -v23
	v_fma_f16 v8, v8, 2.0, -v21
	v_fma_f16 v52, v22, s2, v44
	v_fma_f16 v25, v23, s3, v69
	v_fma_f16 v27, v23, s2, v21
	v_fma_f16 v26, v22, s3, v26
	v_sub_f16_e32 v5, v35, v5
	v_sub_f16_e32 v3, v17, v3
	v_fma_f16 v32, v64, 2.0, -v65
	v_fma_f16 v4, v4, 2.0, -v16
	;; [unrolled: 1-line block ×3, first 2 shown]
	v_sub_f16_e32 v6, v41, v6
	v_sub_f16_e32 v18, v0, v18
	v_fma_f16 v46, v50, 2.0, -v7
	v_fma_f16 v24, v24, 2.0, -v30
	;; [unrolled: 1-line block ×4, first 2 shown]
	v_fma_f16 v22, v9, s3, v34
	v_fma_f16 v23, v10, s3, v54
	;; [unrolled: 1-line block ×3, first 2 shown]
	v_fma_f16 v7, v7, 2.0, -v20
	s_movk_i32 s15, 0x361f
	v_add_f16_e32 v11, v5, v3
	v_sub_f16_e32 v4, v32, v4
	v_sub_f16_e32 v16, v2, v16
	v_add_f16_e32 v42, v6, v18
	v_sub_f16_e32 v24, v46, v24
	v_sub_f16_e32 v30, v1, v30
	v_fma_f16 v22, v50, s2, v22
	v_fma_f16 v10, v53, s2, v10
	;; [unrolled: 1-line block ×3, first 2 shown]
	s_movk_i32 s14, 0x3b64
	v_sub_f16_e32 v36, v4, v16
	v_fma_f16 v43, v42, s2, v11
	v_sub_f16_e32 v47, v24, v30
	v_fma_f16 v53, v10, s15, v22
	v_fma_f16 v9, v9, s3, v50
	v_fma_f16 v17, v17, 2.0, -v3
	v_fma_f16 v1, v1, 2.0, -v30
	;; [unrolled: 1-line block ×8, first 2 shown]
	v_fma_f16 v52, v60, s2, v52
	v_fma_f16 v27, v63, s2, v27
	;; [unrolled: 1-line block ×5, first 2 shown]
	s_mov_b32 s17, 0xbb64
	v_sub_f16_e32 v1, v17, v1
	v_sub_f16_e32 v6, v30, v6
	;; [unrolled: 1-line block ×4, first 2 shown]
	v_fma_f16 v29, v27, s14, v52
	v_fma_f16 v28, v25, s14, v26
	s_mov_b32 s16, 0xb61f
	v_fma_f16 v45, v11, 2.0, -v43
	v_fma_f16 v54, v22, 2.0, -v53
	v_fma_f16 v50, v10, s17, v50
	v_add_f16_e32 v32, v1, v6
	v_sub_f16_e32 v16, v5, v2
	v_fma_f16 v44, v44, 2.0, -v52
	v_fma_f16 v21, v21, 2.0, -v27
	v_fma_f16 v3, v3, 2.0, -v11
	v_fma_f16 v11, v18, 2.0, -v42
	v_fma_f16 v22, v34, 2.0, -v22
	v_fma_f16 v23, v51, 2.0, -v23
	v_fma_f16 v8, v8, 2.0, -v10
	v_fma_f16 v7, v7, 2.0, -v9
	v_fma_f16 v29, v25, s15, v29
	v_fma_f16 v28, v27, s16, v28
	v_fma_f16 v55, v9, 2.0, -v50
	v_fma_f16 v41, v1, 2.0, -v32
	;; [unrolled: 1-line block ×4, first 2 shown]
	v_fma_f16 v27, v21, s16, v44
	v_fma_f16 v20, v20, 2.0, -v26
	v_fma_f16 v4, v4, 2.0, -v36
	v_fma_f16 v18, v11, s3, v3
	v_fma_f16 v24, v24, 2.0, -v47
	v_fma_f16 v10, v8, s17, v22
	v_fma_f16 v9, v23, s17, v7
	v_fma_f16 v1, v17, 2.0, -v1
	v_fma_f16 v0, v0, 2.0, -v2
	;; [unrolled: 1-line block ×4, first 2 shown]
	v_fma_f16 v27, v25, s14, v27
	v_fma_f16 v25, v25, s16, v20
	;; [unrolled: 1-line block ×6, first 2 shown]
	v_sub_f16_e32 v0, v1, v0
	v_sub_f16_e32 v5, v2, v5
	v_mul_u32_u24_e32 v6, 0xd0, v39
	v_fma_f16 v21, v21, s17, v25
	v_fma_f16 v4, v11, s3, v4
	v_fma_f16 v22, v22, 2.0, -v10
	v_fma_f16 v7, v7, 2.0, -v8
	;; [unrolled: 1-line block ×4, first 2 shown]
	v_or_b32_e32 v6, v6, v40
	v_fma_f16 v48, v36, s2, v47
	v_fma_f16 v44, v44, 2.0, -v27
	v_fma_f16 v20, v20, 2.0, -v21
	v_fma_f16 v3, v3, 2.0, -v18
	v_fma_f16 v11, v24, 2.0, -v4
	v_lshlrev_b32_e32 v6, 2, v6
	v_pack_b32_f16 v1, v1, v2
	v_pack_b32_f16 v2, v22, v7
	v_fma_f16 v48, v42, s3, v48
	ds_write2_b32 v6, v1, v2 offset1:13
	v_pack_b32_f16 v1, v3, v11
	v_pack_b32_f16 v2, v44, v20
	v_fma_f16 v31, v52, 2.0, -v29
	v_fma_f16 v33, v26, 2.0, -v28
	;; [unrolled: 1-line block ×3, first 2 shown]
	ds_write2_b32 v6, v1, v2 offset0:26 offset1:39
	v_pack_b32_f16 v1, v41, v35
	v_pack_b32_f16 v2, v54, v55
	ds_write2_b32 v6, v1, v2 offset0:52 offset1:65
	v_pack_b32_f16 v1, v45, v49
	v_pack_b32_f16 v2, v31, v33
	;; [unrolled: 3-line block ×6, first 2 shown]
	ds_write2_b32 v6, v0, v1 offset0:182 offset1:195
.LBB0_21:
	s_or_b64 exec, exec, s[4:5]
	s_waitcnt lgkmcnt(0)
	s_barrier
	ds_read2_b32 v[0:1], v37 offset1:208
	v_add_u32_e32 v4, 0x600, v37
	ds_read2_b32 v[2:3], v4 offset0:32 offset1:240
	ds_read_b32 v5, v37 offset:3328
	s_mov_b32 s2, 0xbb9c
	s_movk_i32 s5, 0x3b9c
	s_waitcnt lgkmcnt(2)
	v_lshrrev_b32_e32 v7, 16, v1
	v_mul_f16_sdwa v11, v12, v7 dst_sel:DWORD dst_unused:UNUSED_PAD src0_sel:WORD_1 src1_sel:DWORD
	s_waitcnt lgkmcnt(1)
	v_lshrrev_b32_e32 v8, 16, v2
	v_fma_f16 v11, v12, v1, v11
	v_mul_f16_sdwa v1, v12, v1 dst_sel:DWORD dst_unused:UNUSED_PAD src0_sel:WORD_1 src1_sel:DWORD
	v_fma_f16 v1, v12, v7, -v1
	v_mul_f16_sdwa v7, v13, v8 dst_sel:DWORD dst_unused:UNUSED_PAD src0_sel:WORD_1 src1_sel:DWORD
	v_lshrrev_b32_e32 v9, 16, v3
	v_fma_f16 v7, v13, v2, v7
	v_mul_f16_sdwa v2, v13, v2 dst_sel:DWORD dst_unused:UNUSED_PAD src0_sel:WORD_1 src1_sel:DWORD
	v_fma_f16 v2, v13, v8, -v2
	v_mul_f16_sdwa v8, v14, v9 dst_sel:DWORD dst_unused:UNUSED_PAD src0_sel:WORD_1 src1_sel:DWORD
	s_waitcnt lgkmcnt(0)
	v_lshrrev_b32_e32 v10, 16, v5
	v_fma_f16 v8, v14, v3, v8
	v_mul_f16_sdwa v3, v14, v3 dst_sel:DWORD dst_unused:UNUSED_PAD src0_sel:WORD_1 src1_sel:DWORD
	v_fma_f16 v3, v14, v9, -v3
	v_mul_f16_sdwa v9, v15, v10 dst_sel:DWORD dst_unused:UNUSED_PAD src0_sel:WORD_1 src1_sel:DWORD
	v_fma_f16 v9, v15, v5, v9
	v_mul_f16_sdwa v5, v15, v5 dst_sel:DWORD dst_unused:UNUSED_PAD src0_sel:WORD_1 src1_sel:DWORD
	v_fma_f16 v5, v15, v10, -v5
	v_add_f16_e32 v12, v7, v8
	v_fma_f16 v12, v12, -0.5, v0
	v_sub_f16_e32 v13, v1, v5
	v_fma_f16 v14, v13, s2, v12
	v_sub_f16_e32 v15, v2, v3
	s_mov_b32 s3, 0xb8b4
	v_sub_f16_e32 v16, v11, v7
	v_sub_f16_e32 v17, v9, v8
	v_fma_f16 v12, v13, s5, v12
	s_movk_i32 s14, 0x38b4
	v_fma_f16 v14, v15, s3, v14
	v_add_f16_e32 v16, v16, v17
	s_movk_i32 s4, 0x34f2
	v_fma_f16 v12, v15, s14, v12
	v_add_f16_e32 v10, v0, v11
	v_fma_f16 v14, v16, s4, v14
	v_fma_f16 v12, v16, s4, v12
	v_add_f16_e32 v16, v11, v9
	v_lshrrev_b32_e32 v6, 16, v0
	v_add_f16_e32 v10, v10, v7
	v_fma_f16 v0, v16, -0.5, v0
	v_add_f16_e32 v10, v10, v8
	v_fma_f16 v16, v15, s5, v0
	v_fma_f16 v0, v15, s2, v0
	v_add_f16_e32 v15, v2, v3
	v_add_f16_e32 v10, v10, v9
	v_sub_f16_e32 v17, v7, v11
	v_sub_f16_e32 v18, v8, v9
	v_fma_f16 v15, v15, -0.5, v6
	v_sub_f16_e32 v9, v11, v9
	v_fma_f16 v16, v13, s3, v16
	v_add_f16_e32 v17, v17, v18
	v_fma_f16 v0, v13, s14, v0
	v_fma_f16 v11, v9, s5, v15
	v_sub_f16_e32 v7, v7, v8
	v_fma_f16 v16, v17, s4, v16
	v_fma_f16 v0, v17, s4, v0
	v_fma_f16 v8, v7, s14, v11
	v_sub_f16_e32 v11, v1, v2
	v_sub_f16_e32 v17, v5, v3
	v_fma_f16 v15, v9, s2, v15
	v_add_f16_e32 v11, v11, v17
	v_fma_f16 v15, v7, s3, v15
	v_add_f16_e32 v13, v6, v1
	v_fma_f16 v8, v11, s4, v8
	v_fma_f16 v11, v11, s4, v15
	v_add_f16_e32 v15, v1, v5
	v_add_f16_e32 v13, v13, v2
	v_fma_f16 v6, v15, -0.5, v6
	v_add_f16_e32 v13, v13, v3
	v_fma_f16 v15, v7, s2, v6
	v_sub_f16_e32 v1, v2, v1
	v_sub_f16_e32 v2, v3, v5
	v_fma_f16 v3, v7, s5, v6
	v_fma_f16 v15, v9, s14, v15
	v_add_f16_e32 v1, v1, v2
	v_fma_f16 v3, v9, s3, v3
	v_fma_f16 v2, v1, s4, v15
	;; [unrolled: 1-line block ×3, first 2 shown]
	v_add_f16_e32 v13, v13, v5
	v_pack_b32_f16 v2, v16, v2
	v_pack_b32_f16 v0, v0, v1
	;; [unrolled: 1-line block ×4, first 2 shown]
	ds_write2_b32 v4, v2, v0 offset0:32 offset1:240
	v_pack_b32_f16 v0, v12, v11
	ds_write2_b32 v37, v3, v5 offset1:208
	ds_write_b32 v37, v0 offset:3328
	s_waitcnt lgkmcnt(0)
	s_barrier
	s_and_b64 exec, exec, s[0:1]
	s_cbranch_execz .LBB0_23
; %bb.22:
	global_load_dword v5, v37, s[6:7]
	global_load_dword v8, v37, s[6:7] offset:320
	ds_read_b32 v17, v37
	ds_read2_b32 v[0:1], v37 offset0:80 offset1:160
	global_load_dword v9, v37, s[6:7] offset:640
	global_load_dword v10, v37, s[6:7] offset:960
	;; [unrolled: 1-line block ×5, first 2 shown]
	v_mad_u64_u32 v[13:14], s[0:1], s10, v19, 0
	v_mad_u64_u32 v[2:3], s[0:1], s8, v38, 0
	v_mov_b32_e32 v6, v14
	v_mov_b32_e32 v4, 0x7c00
	s_mov_b32 s14, 0x1f81f820
	s_mov_b32 s15, 0x3f4f81f8
	s_movk_i32 s18, 0x1ff
	s_waitcnt lgkmcnt(0)
	v_lshrrev_b32_e32 v20, 16, v0
	s_movk_i32 s17, 0xffe
	s_movk_i32 s16, 0x40f
	s_mov_b32 s10, 0x8000
	s_waitcnt vmcnt(0)
	v_mad_u64_u32 v[14:15], s[0:1], s11, v19, v[6:7]
	v_lshrrev_b32_e32 v6, 16, v17
	v_mad_u64_u32 v[15:16], s[0:1], s9, v38, v[3:4]
	v_mul_f16_sdwa v3, v6, v5 dst_sel:DWORD dst_unused:UNUSED_PAD src0_sel:DWORD src1_sel:WORD_1
	v_fma_f16 v3, v17, v5, v3
	v_mul_f16_sdwa v16, v17, v5 dst_sel:DWORD dst_unused:UNUSED_PAD src0_sel:DWORD src1_sel:WORD_1
	v_cvt_f32_f16_e32 v3, v3
	v_fma_f16 v5, v5, v6, -v16
	v_cvt_f32_f16_e32 v16, v5
	v_lshlrev_b64 v[13:14], 2, v[13:14]
	v_cvt_f64_f32_e32 v[5:6], v3
	v_mul_f16_sdwa v3, v20, v8 dst_sel:DWORD dst_unused:UNUSED_PAD src0_sel:DWORD src1_sel:WORD_1
	v_cvt_f64_f32_e32 v[16:17], v16
	v_fma_f16 v3, v0, v8, v3
	v_mul_f64 v[5:6], v[5:6], s[14:15]
	v_cvt_f32_f16_e32 v18, v3
	v_mul_f64 v[16:17], v[16:17], s[14:15]
	v_mov_b32_e32 v3, v15
	v_lshlrev_b64 v[2:3], 2, v[2:3]
	v_cvt_f64_f32_e32 v[18:19], v18
	v_mul_f16_sdwa v0, v0, v8 dst_sel:DWORD dst_unused:UNUSED_PAD src0_sel:DWORD src1_sel:WORD_1
	v_fma_f16 v0, v8, v20, -v0
	v_and_or_b32 v5, v6, s18, v5
	v_cmp_ne_u32_e32 vcc, 0, v5
	v_and_or_b32 v16, v17, s18, v16
	v_lshrrev_b32_e32 v15, 8, v6
	v_bfe_u32 v21, v6, 20, 11
	v_cndmask_b32_e64 v5, 0, 1, vcc
	v_cmp_ne_u32_e32 vcc, 0, v16
	v_lshrrev_b32_e32 v22, 8, v17
	v_bfe_u32 v23, v17, 20, 11
	v_sub_u32_e32 v24, 0x3f1, v21
	v_cndmask_b32_e64 v16, 0, 1, vcc
	v_and_or_b32 v5, v15, s17, v5
	v_sub_u32_e32 v25, 0x3f1, v23
	v_med3_i32 v15, v24, 0, 13
	v_and_or_b32 v16, v22, s17, v16
	v_or_b32_e32 v24, 0x1000, v5
	v_add_u32_e32 v21, 0xfffffc10, v21
	v_med3_i32 v22, v25, 0, 13
	v_cmp_ne_u32_e32 vcc, 0, v5
	v_or_b32_e32 v26, 0x1000, v16
	v_lshrrev_b32_e32 v28, v15, v24
	v_add_u32_e32 v23, 0xfffffc10, v23
	v_lshl_or_b32 v25, v21, 12, v5
	v_cndmask_b32_e64 v5, 0, 1, vcc
	v_cmp_ne_u32_e32 vcc, 0, v16
	v_lshrrev_b32_e32 v29, v22, v26
	v_lshlrev_b32_e32 v15, v15, v28
	v_lshl_or_b32 v27, v23, 12, v16
	v_cndmask_b32_e64 v16, 0, 1, vcc
	v_lshlrev_b32_e32 v22, v22, v29
	v_cmp_ne_u32_e32 vcc, v15, v24
	v_cndmask_b32_e64 v15, 0, 1, vcc
	v_cmp_ne_u32_e32 vcc, v22, v26
	v_cndmask_b32_e64 v22, 0, 1, vcc
	v_or_b32_e32 v15, v28, v15
	v_cmp_gt_i32_e32 vcc, 1, v21
	v_cndmask_b32_e32 v15, v25, v15, vcc
	v_or_b32_e32 v22, v29, v22
	v_cmp_gt_i32_e32 vcc, 1, v23
	v_and_b32_e32 v24, 7, v15
	v_cndmask_b32_e32 v22, v27, v22, vcc
	v_cmp_lt_i32_e32 vcc, 5, v24
	v_cmp_eq_u32_e64 s[0:1], 3, v24
	v_lshrrev_b32_e32 v15, 2, v15
	v_and_b32_e32 v25, 7, v22
	s_or_b64 vcc, s[0:1], vcc
	v_cmp_lt_i32_e64 s[2:3], 5, v25
	v_cmp_eq_u32_e64 s[4:5], 3, v25
	v_addc_co_u32_e32 v15, vcc, 0, v15, vcc
	v_lshrrev_b32_e32 v22, 2, v22
	s_or_b64 vcc, s[4:5], s[2:3]
	v_addc_co_u32_e32 v22, vcc, 0, v22, vcc
	v_cmp_gt_i32_e32 vcc, 31, v21
	v_cndmask_b32_e32 v15, v4, v15, vcc
	v_cmp_gt_i32_e32 vcc, 31, v23
	v_lshl_or_b32 v5, v5, 9, v4
	v_cndmask_b32_e32 v22, v4, v22, vcc
	v_cmp_eq_u32_e32 vcc, s16, v21
	v_lshl_or_b32 v16, v16, 9, v4
	v_cndmask_b32_e32 v5, v15, v5, vcc
	v_cmp_eq_u32_e32 vcc, s16, v23
	v_lshrrev_b32_e32 v6, 16, v6
	v_lshrrev_b32_e32 v17, 16, v17
	v_cndmask_b32_e32 v15, v22, v16, vcc
	v_and_or_b32 v5, v6, s10, v5
	v_and_or_b32 v6, v17, s10, v15
	v_mul_f64 v[15:16], v[18:19], s[14:15]
	v_and_b32_e32 v5, 0xffff, v5
	v_lshl_or_b32 v17, v6, 16, v5
	v_mov_b32_e32 v6, s13
	v_add_co_u32_e32 v5, vcc, s12, v13
	v_addc_co_u32_e32 v6, vcc, v6, v14, vcc
	v_add_co_u32_e32 v2, vcc, v5, v2
	v_addc_co_u32_e32 v3, vcc, v6, v3, vcc
	v_and_or_b32 v13, v16, s18, v15
	v_cmp_ne_u32_e32 vcc, 0, v13
	v_cndmask_b32_e64 v13, 0, 1, vcc
	v_lshrrev_b32_e32 v14, 8, v16
	v_and_or_b32 v15, v14, s17, v13
	v_bfe_u32 v14, v16, 20, 11
	global_store_dword v[2:3], v17, off
	v_sub_u32_e32 v17, 0x3f1, v14
	v_or_b32_e32 v13, 0x1000, v15
	v_med3_i32 v17, v17, 0, 13
	v_lshrrev_b32_e32 v18, v17, v13
	v_lshlrev_b32_e32 v17, v17, v18
	v_cmp_ne_u32_e32 vcc, v17, v13
	v_cndmask_b32_e64 v13, 0, 1, vcc
	v_add_u32_e32 v17, 0xfffffc10, v14
	v_cvt_f32_f16_e32 v0, v0
	v_or_b32_e32 v13, v18, v13
	v_lshl_or_b32 v14, v17, 12, v15
	v_cmp_gt_i32_e32 vcc, 1, v17
	v_cndmask_b32_e32 v13, v14, v13, vcc
	v_and_b32_e32 v14, 7, v13
	v_cmp_lt_i32_e32 vcc, 5, v14
	v_cmp_eq_u32_e64 s[0:1], 3, v14
	v_lshrrev_b32_e32 v8, 2, v13
	v_cvt_f64_f32_e32 v[13:14], v0
	s_or_b64 vcc, s[0:1], vcc
	v_addc_co_u32_e32 v0, vcc, 0, v8, vcc
	v_mul_f64 v[13:14], v[13:14], s[14:15]
	v_cmp_gt_i32_e32 vcc, 31, v17
	v_cndmask_b32_e32 v0, v4, v0, vcc
	v_cmp_ne_u32_e32 vcc, 0, v15
	v_cndmask_b32_e64 v8, 0, 1, vcc
	v_lshl_or_b32 v8, v8, 9, v4
	v_cmp_eq_u32_e32 vcc, s16, v17
	v_cndmask_b32_e32 v0, v0, v8, vcc
	v_lshrrev_b32_e32 v8, 16, v16
	v_and_or_b32 v0, v8, s10, v0
	v_and_or_b32 v8, v14, s18, v13
	v_cmp_ne_u32_e32 vcc, 0, v8
	v_cndmask_b32_e64 v8, 0, 1, vcc
	v_lshrrev_b32_e32 v13, 8, v14
	v_bfe_u32 v15, v14, 20, 11
	v_and_or_b32 v8, v13, s17, v8
	v_sub_u32_e32 v16, 0x3f1, v15
	v_or_b32_e32 v13, 0x1000, v8
	v_med3_i32 v16, v16, 0, 13
	v_lshrrev_b32_e32 v17, v16, v13
	v_lshlrev_b32_e32 v16, v16, v17
	v_cmp_ne_u32_e32 vcc, v16, v13
	v_cndmask_b32_e64 v13, 0, 1, vcc
	v_add_u32_e32 v15, 0xfffffc10, v15
	v_or_b32_e32 v13, v17, v13
	v_lshl_or_b32 v16, v15, 12, v8
	v_cmp_gt_i32_e32 vcc, 1, v15
	v_cndmask_b32_e32 v13, v16, v13, vcc
	v_and_b32_e32 v16, 7, v13
	v_cmp_lt_i32_e32 vcc, 5, v16
	v_cmp_eq_u32_e64 s[0:1], 3, v16
	v_lshrrev_b32_e32 v13, 2, v13
	s_or_b64 vcc, s[0:1], vcc
	v_addc_co_u32_e32 v13, vcc, 0, v13, vcc
	v_cmp_gt_i32_e32 vcc, 31, v15
	v_cndmask_b32_e32 v13, v4, v13, vcc
	v_cmp_ne_u32_e32 vcc, 0, v8
	v_cndmask_b32_e64 v8, 0, 1, vcc
	v_lshl_or_b32 v8, v8, 9, v4
	v_cmp_eq_u32_e32 vcc, s16, v15
	v_lshrrev_b32_e32 v15, 16, v1
	v_cndmask_b32_e32 v8, v13, v8, vcc
	v_lshrrev_b32_e32 v13, 16, v14
	v_mul_f16_sdwa v14, v15, v9 dst_sel:DWORD dst_unused:UNUSED_PAD src0_sel:DWORD src1_sel:WORD_1
	v_fma_f16 v14, v1, v9, v14
	v_cvt_f32_f16_e32 v14, v14
	v_and_or_b32 v8, v13, s10, v8
	s_mul_i32 s0, s9, 0x140
	s_mul_hi_u32 s2, s8, 0x140
	v_cvt_f64_f32_e32 v[13:14], v14
	v_and_b32_e32 v0, 0xffff, v0
	s_add_i32 s2, s2, s0
	s_mul_i32 s3, s8, 0x140
	v_mul_f64 v[13:14], v[13:14], s[14:15]
	v_lshl_or_b32 v0, v8, 16, v0
	v_mov_b32_e32 v8, s2
	v_add_co_u32_e32 v2, vcc, s3, v2
	v_addc_co_u32_e32 v3, vcc, v3, v8, vcc
	global_store_dword v[2:3], v0, off
	v_and_or_b32 v0, v14, s18, v13
	v_cmp_ne_u32_e32 vcc, 0, v0
	v_cndmask_b32_e64 v0, 0, 1, vcc
	v_lshrrev_b32_e32 v8, 8, v14
	v_bfe_u32 v13, v14, 20, 11
	v_and_or_b32 v8, v8, s17, v0
	v_sub_u32_e32 v16, 0x3f1, v13
	v_or_b32_e32 v0, 0x1000, v8
	v_med3_i32 v16, v16, 0, 13
	v_lshrrev_b32_e32 v17, v16, v0
	v_mul_f16_sdwa v1, v1, v9 dst_sel:DWORD dst_unused:UNUSED_PAD src0_sel:DWORD src1_sel:WORD_1
	v_lshlrev_b32_e32 v16, v16, v17
	v_fma_f16 v1, v9, v15, -v1
	v_cmp_ne_u32_e32 vcc, v16, v0
	v_cvt_f32_f16_e32 v1, v1
	v_cndmask_b32_e64 v0, 0, 1, vcc
	v_add_u32_e32 v13, 0xfffffc10, v13
	v_or_b32_e32 v0, v17, v0
	v_lshl_or_b32 v16, v13, 12, v8
	v_cmp_gt_i32_e32 vcc, 1, v13
	v_cndmask_b32_e32 v0, v16, v0, vcc
	v_and_b32_e32 v16, 7, v0
	v_lshrrev_b32_e32 v9, 2, v0
	v_cvt_f64_f32_e32 v[0:1], v1
	v_cmp_lt_i32_e32 vcc, 5, v16
	v_cmp_eq_u32_e64 s[0:1], 3, v16
	s_or_b64 vcc, s[0:1], vcc
	v_mul_f64 v[0:1], v[0:1], s[14:15]
	v_addc_co_u32_e32 v9, vcc, 0, v9, vcc
	v_cmp_gt_i32_e32 vcc, 31, v13
	v_cndmask_b32_e32 v9, v4, v9, vcc
	v_cmp_ne_u32_e32 vcc, 0, v8
	v_cndmask_b32_e64 v8, 0, 1, vcc
	v_lshl_or_b32 v8, v8, 9, v4
	v_cmp_eq_u32_e32 vcc, s16, v13
	v_and_or_b32 v0, v1, s18, v0
	v_cndmask_b32_e32 v8, v9, v8, vcc
	v_lshrrev_b32_e32 v9, 16, v14
	v_cmp_ne_u32_e32 vcc, 0, v0
	v_and_or_b32 v15, v9, s10, v8
	v_cndmask_b32_e64 v0, 0, 1, vcc
	v_lshrrev_b32_e32 v8, 8, v1
	v_bfe_u32 v9, v1, 20, 11
	v_and_or_b32 v0, v8, s17, v0
	v_sub_u32_e32 v13, 0x3f1, v9
	v_or_b32_e32 v8, 0x1000, v0
	v_med3_i32 v13, v13, 0, 13
	v_lshrrev_b32_e32 v14, v13, v8
	v_lshlrev_b32_e32 v13, v13, v14
	v_cmp_ne_u32_e32 vcc, v13, v8
	v_cndmask_b32_e64 v8, 0, 1, vcc
	v_add_u32_e32 v13, 0xfffffc10, v9
	v_or_b32_e32 v8, v14, v8
	v_lshl_or_b32 v9, v13, 12, v0
	v_cmp_gt_i32_e32 vcc, 1, v13
	v_cndmask_b32_e32 v8, v9, v8, vcc
	v_and_b32_e32 v9, 7, v8
	v_cmp_lt_i32_e32 vcc, 5, v9
	v_cmp_eq_u32_e64 s[0:1], 3, v9
	v_lshrrev_b32_e32 v8, 2, v8
	s_or_b64 vcc, s[0:1], vcc
	v_addc_co_u32_e32 v14, vcc, 0, v8, vcc
	v_add_u32_e32 v8, 0x200, v37
	ds_read2_b32 v[8:9], v8 offset0:112 offset1:192
	v_cmp_gt_i32_e32 vcc, 31, v13
	v_cndmask_b32_e32 v14, v4, v14, vcc
	v_cmp_ne_u32_e32 vcc, 0, v0
	v_cndmask_b32_e64 v0, 0, 1, vcc
	s_waitcnt lgkmcnt(0)
	v_lshrrev_b32_e32 v16, 16, v8
	v_mul_f16_sdwa v17, v16, v10 dst_sel:DWORD dst_unused:UNUSED_PAD src0_sel:DWORD src1_sel:WORD_1
	v_fma_f16 v17, v8, v10, v17
	v_cvt_f32_f16_e32 v17, v17
	v_lshl_or_b32 v0, v0, 9, v4
	v_cmp_eq_u32_e32 vcc, s16, v13
	v_cndmask_b32_e32 v0, v14, v0, vcc
	v_cvt_f64_f32_e32 v[13:14], v17
	v_lshrrev_b32_e32 v1, 16, v1
	v_and_or_b32 v17, v1, s10, v0
	v_add_co_u32_e32 v2, vcc, s3, v2
	v_mul_f64 v[0:1], v[13:14], s[14:15]
	v_mov_b32_e32 v14, s2
	v_and_b32_e32 v15, 0xffff, v15
	v_addc_co_u32_e32 v3, vcc, v3, v14, vcc
	v_lshl_or_b32 v13, v17, 16, v15
	global_store_dword v[2:3], v13, off
	v_mul_f16_sdwa v8, v8, v10 dst_sel:DWORD dst_unused:UNUSED_PAD src0_sel:DWORD src1_sel:WORD_1
	v_and_or_b32 v0, v1, s18, v0
	v_cmp_ne_u32_e32 vcc, 0, v0
	v_cndmask_b32_e64 v0, 0, 1, vcc
	v_lshrrev_b32_e32 v13, 8, v1
	v_bfe_u32 v14, v1, 20, 11
	v_and_or_b32 v0, v13, s17, v0
	v_sub_u32_e32 v15, 0x3f1, v14
	v_or_b32_e32 v13, 0x1000, v0
	v_med3_i32 v15, v15, 0, 13
	v_lshrrev_b32_e32 v17, v15, v13
	v_lshlrev_b32_e32 v15, v15, v17
	v_cmp_ne_u32_e32 vcc, v15, v13
	v_fma_f16 v8, v10, v16, -v8
	v_cndmask_b32_e64 v13, 0, 1, vcc
	v_add_u32_e32 v15, 0xfffffc10, v14
	v_cvt_f32_f16_e32 v8, v8
	v_or_b32_e32 v13, v17, v13
	v_lshl_or_b32 v14, v15, 12, v0
	v_cmp_gt_i32_e32 vcc, 1, v15
	v_cndmask_b32_e32 v13, v14, v13, vcc
	v_and_b32_e32 v14, 7, v13
	v_cmp_lt_i32_e32 vcc, 5, v14
	v_cmp_eq_u32_e64 s[0:1], 3, v14
	v_lshrrev_b32_e32 v10, 2, v13
	v_cvt_f64_f32_e32 v[13:14], v8
	s_or_b64 vcc, s[0:1], vcc
	v_addc_co_u32_e32 v8, vcc, 0, v10, vcc
	v_mul_f64 v[13:14], v[13:14], s[14:15]
	v_cmp_gt_i32_e32 vcc, 31, v15
	v_cndmask_b32_e32 v8, v4, v8, vcc
	v_cmp_ne_u32_e32 vcc, 0, v0
	v_cndmask_b32_e64 v0, 0, 1, vcc
	v_lshl_or_b32 v0, v0, 9, v4
	v_cmp_eq_u32_e32 vcc, s16, v15
	v_cndmask_b32_e32 v0, v8, v0, vcc
	v_lshrrev_b32_e32 v1, 16, v1
	v_and_or_b32 v8, v1, s10, v0
	v_and_or_b32 v0, v14, s18, v13
	v_cmp_ne_u32_e32 vcc, 0, v0
	v_cndmask_b32_e64 v0, 0, 1, vcc
	v_lshrrev_b32_e32 v1, 8, v14
	v_bfe_u32 v10, v14, 20, 11
	v_and_or_b32 v0, v1, s17, v0
	v_sub_u32_e32 v13, 0x3f1, v10
	v_or_b32_e32 v1, 0x1000, v0
	v_med3_i32 v13, v13, 0, 13
	v_lshrrev_b32_e32 v15, v13, v1
	v_lshlrev_b32_e32 v13, v13, v15
	v_cmp_ne_u32_e32 vcc, v13, v1
	v_cndmask_b32_e64 v1, 0, 1, vcc
	v_add_u32_e32 v10, 0xfffffc10, v10
	v_or_b32_e32 v1, v15, v1
	v_lshl_or_b32 v13, v10, 12, v0
	v_cmp_gt_i32_e32 vcc, 1, v10
	v_cndmask_b32_e32 v1, v13, v1, vcc
	v_and_b32_e32 v13, 7, v1
	v_cmp_lt_i32_e32 vcc, 5, v13
	v_cmp_eq_u32_e64 s[0:1], 3, v13
	v_lshrrev_b32_e32 v13, 16, v9
	v_lshrrev_b32_e32 v1, 2, v1
	s_or_b64 vcc, s[0:1], vcc
	v_mul_f16_sdwa v15, v13, v11 dst_sel:DWORD dst_unused:UNUSED_PAD src0_sel:DWORD src1_sel:WORD_1
	v_addc_co_u32_e32 v1, vcc, 0, v1, vcc
	v_fma_f16 v15, v9, v11, v15
	v_cmp_gt_i32_e32 vcc, 31, v10
	v_cvt_f32_f16_e32 v15, v15
	v_cndmask_b32_e32 v1, v4, v1, vcc
	v_cmp_ne_u32_e32 vcc, 0, v0
	v_cndmask_b32_e64 v0, 0, 1, vcc
	v_lshl_or_b32 v0, v0, 9, v4
	v_cmp_eq_u32_e32 vcc, s16, v10
	v_cndmask_b32_e32 v10, v1, v0, vcc
	v_cvt_f64_f32_e32 v[0:1], v15
	v_lshrrev_b32_e32 v14, 16, v14
	v_and_or_b32 v10, v14, s10, v10
	v_and_b32_e32 v8, 0xffff, v8
	v_mul_f64 v[0:1], v[0:1], s[14:15]
	v_lshl_or_b32 v8, v10, 16, v8
	v_mov_b32_e32 v10, s2
	v_add_co_u32_e32 v2, vcc, s3, v2
	v_addc_co_u32_e32 v3, vcc, v3, v10, vcc
	global_store_dword v[2:3], v8, off
	v_and_or_b32 v0, v1, s18, v0
	v_cmp_ne_u32_e32 vcc, 0, v0
	v_cndmask_b32_e64 v0, 0, 1, vcc
	v_lshrrev_b32_e32 v8, 8, v1
	v_bfe_u32 v10, v1, 20, 11
	v_and_or_b32 v0, v8, s17, v0
	v_sub_u32_e32 v14, 0x3f1, v10
	v_or_b32_e32 v8, 0x1000, v0
	v_med3_i32 v14, v14, 0, 13
	v_lshrrev_b32_e32 v15, v14, v8
	v_mul_f16_sdwa v9, v9, v11 dst_sel:DWORD dst_unused:UNUSED_PAD src0_sel:DWORD src1_sel:WORD_1
	v_lshlrev_b32_e32 v14, v14, v15
	v_fma_f16 v9, v11, v13, -v9
	v_cmp_ne_u32_e32 vcc, v14, v8
	v_cvt_f32_f16_e32 v9, v9
	v_cndmask_b32_e64 v8, 0, 1, vcc
	v_add_u32_e32 v10, 0xfffffc10, v10
	v_or_b32_e32 v8, v15, v8
	v_lshl_or_b32 v14, v10, 12, v0
	v_cmp_gt_i32_e32 vcc, 1, v10
	v_cndmask_b32_e32 v8, v14, v8, vcc
	v_and_b32_e32 v14, 7, v8
	v_lshrrev_b32_e32 v11, 2, v8
	v_cvt_f64_f32_e32 v[8:9], v9
	v_cmp_lt_i32_e32 vcc, 5, v14
	v_cmp_eq_u32_e64 s[0:1], 3, v14
	s_or_b64 vcc, s[0:1], vcc
	v_mul_f64 v[8:9], v[8:9], s[14:15]
	v_addc_co_u32_e32 v11, vcc, 0, v11, vcc
	v_cmp_gt_i32_e32 vcc, 31, v10
	v_cndmask_b32_e32 v11, v4, v11, vcc
	v_cmp_ne_u32_e32 vcc, 0, v0
	v_cndmask_b32_e64 v0, 0, 1, vcc
	v_lshl_or_b32 v0, v0, 9, v4
	v_cmp_eq_u32_e32 vcc, s16, v10
	v_cndmask_b32_e32 v0, v11, v0, vcc
	v_lshrrev_b32_e32 v1, 16, v1
	v_and_or_b32 v13, v1, s10, v0
	v_and_or_b32 v0, v9, s18, v8
	v_cmp_ne_u32_e32 vcc, 0, v0
	v_cndmask_b32_e64 v0, 0, 1, vcc
	v_lshrrev_b32_e32 v1, 8, v9
	v_and_or_b32 v8, v1, s17, v0
	v_bfe_u32 v1, v9, 20, 11
	v_sub_u32_e32 v10, 0x3f1, v1
	v_or_b32_e32 v0, 0x1000, v8
	v_med3_i32 v10, v10, 0, 13
	v_lshrrev_b32_e32 v11, v10, v0
	v_lshlrev_b32_e32 v10, v10, v11
	v_cmp_ne_u32_e32 vcc, v10, v0
	v_cndmask_b32_e64 v0, 0, 1, vcc
	v_add_u32_e32 v10, 0xfffffc10, v1
	v_or_b32_e32 v0, v11, v0
	v_lshl_or_b32 v1, v10, 12, v8
	v_cmp_gt_i32_e32 vcc, 1, v10
	v_cndmask_b32_e32 v0, v1, v0, vcc
	v_and_b32_e32 v1, 7, v0
	v_cmp_lt_i32_e32 vcc, 5, v1
	v_cmp_eq_u32_e64 s[0:1], 3, v1
	v_lshrrev_b32_e32 v0, 2, v0
	s_or_b64 vcc, s[0:1], vcc
	v_addc_co_u32_e32 v11, vcc, 0, v0, vcc
	v_add_u32_e32 v0, 0x400, v37
	ds_read2_b32 v[0:1], v0 offset0:144 offset1:224
	v_cmp_gt_i32_e32 vcc, 31, v10
	v_cndmask_b32_e32 v11, v4, v11, vcc
	v_cmp_ne_u32_e32 vcc, 0, v8
	v_cndmask_b32_e64 v8, 0, 1, vcc
	s_waitcnt lgkmcnt(0)
	v_lshrrev_b32_e32 v14, 16, v0
	v_mul_f16_sdwa v15, v14, v12 dst_sel:DWORD dst_unused:UNUSED_PAD src0_sel:DWORD src1_sel:WORD_1
	v_fma_f16 v15, v0, v12, v15
	v_cvt_f32_f16_e32 v15, v15
	v_lshl_or_b32 v8, v8, 9, v4
	v_cmp_eq_u32_e32 vcc, s16, v10
	v_cndmask_b32_e32 v8, v11, v8, vcc
	v_cvt_f64_f32_e32 v[10:11], v15
	v_lshrrev_b32_e32 v9, 16, v9
	v_and_or_b32 v15, v9, s10, v8
	v_add_co_u32_e32 v2, vcc, s3, v2
	v_mul_f64 v[8:9], v[10:11], s[14:15]
	v_mov_b32_e32 v11, s2
	v_and_b32_e32 v13, 0xffff, v13
	v_addc_co_u32_e32 v3, vcc, v3, v11, vcc
	v_lshl_or_b32 v10, v15, 16, v13
	global_store_dword v[2:3], v10, off
	v_mul_f16_sdwa v0, v0, v12 dst_sel:DWORD dst_unused:UNUSED_PAD src0_sel:DWORD src1_sel:WORD_1
	v_and_or_b32 v8, v9, s18, v8
	v_cmp_ne_u32_e32 vcc, 0, v8
	v_cndmask_b32_e64 v8, 0, 1, vcc
	v_lshrrev_b32_e32 v10, 8, v9
	v_bfe_u32 v11, v9, 20, 11
	v_and_or_b32 v8, v10, s17, v8
	v_sub_u32_e32 v13, 0x3f1, v11
	v_or_b32_e32 v10, 0x1000, v8
	v_med3_i32 v13, v13, 0, 13
	v_lshrrev_b32_e32 v15, v13, v10
	v_lshlrev_b32_e32 v13, v13, v15
	v_cmp_ne_u32_e32 vcc, v13, v10
	v_fma_f16 v0, v12, v14, -v0
	v_cndmask_b32_e64 v10, 0, 1, vcc
	v_add_u32_e32 v13, 0xfffffc10, v11
	v_cvt_f32_f16_e32 v0, v0
	v_or_b32_e32 v10, v15, v10
	v_lshl_or_b32 v11, v13, 12, v8
	v_cmp_gt_i32_e32 vcc, 1, v13
	v_cndmask_b32_e32 v10, v11, v10, vcc
	v_and_b32_e32 v11, 7, v10
	v_cmp_lt_i32_e32 vcc, 5, v11
	v_cmp_eq_u32_e64 s[0:1], 3, v11
	v_lshrrev_b32_e32 v12, 2, v10
	v_cvt_f64_f32_e32 v[10:11], v0
	s_or_b64 vcc, s[0:1], vcc
	v_addc_co_u32_e32 v0, vcc, 0, v12, vcc
	v_mul_f64 v[10:11], v[10:11], s[14:15]
	v_cmp_gt_i32_e32 vcc, 31, v13
	v_cndmask_b32_e32 v0, v4, v0, vcc
	v_cmp_ne_u32_e32 vcc, 0, v8
	v_cndmask_b32_e64 v8, 0, 1, vcc
	v_lshl_or_b32 v8, v8, 9, v4
	v_cmp_eq_u32_e32 vcc, s16, v13
	v_cndmask_b32_e32 v0, v0, v8, vcc
	v_lshrrev_b32_e32 v8, 16, v9
	v_and_or_b32 v0, v8, s10, v0
	v_and_or_b32 v8, v11, s18, v10
	v_cmp_ne_u32_e32 vcc, 0, v8
	v_cndmask_b32_e64 v8, 0, 1, vcc
	v_lshrrev_b32_e32 v9, 8, v11
	v_bfe_u32 v10, v11, 20, 11
	v_and_or_b32 v8, v9, s17, v8
	v_sub_u32_e32 v12, 0x3f1, v10
	v_or_b32_e32 v9, 0x1000, v8
	v_med3_i32 v12, v12, 0, 13
	v_lshrrev_b32_e32 v13, v12, v9
	v_lshlrev_b32_e32 v12, v12, v13
	v_cmp_ne_u32_e32 vcc, v12, v9
	v_cndmask_b32_e64 v9, 0, 1, vcc
	v_add_u32_e32 v10, 0xfffffc10, v10
	v_or_b32_e32 v9, v13, v9
	v_lshl_or_b32 v12, v10, 12, v8
	v_cmp_gt_i32_e32 vcc, 1, v10
	v_cndmask_b32_e32 v9, v12, v9, vcc
	v_and_b32_e32 v12, 7, v9
	v_cmp_lt_i32_e32 vcc, 5, v12
	v_cmp_eq_u32_e64 s[0:1], 3, v12
	v_lshrrev_b32_e32 v12, 16, v1
	v_lshrrev_b32_e32 v9, 2, v9
	s_or_b64 vcc, s[0:1], vcc
	v_mul_f16_sdwa v13, v12, v7 dst_sel:DWORD dst_unused:UNUSED_PAD src0_sel:DWORD src1_sel:WORD_1
	v_addc_co_u32_e32 v9, vcc, 0, v9, vcc
	v_fma_f16 v13, v1, v7, v13
	v_cmp_gt_i32_e32 vcc, 31, v10
	v_cvt_f32_f16_e32 v13, v13
	v_cndmask_b32_e32 v9, v4, v9, vcc
	v_cmp_ne_u32_e32 vcc, 0, v8
	v_cndmask_b32_e64 v8, 0, 1, vcc
	v_lshl_or_b32 v8, v8, 9, v4
	v_cmp_eq_u32_e32 vcc, s16, v10
	v_cndmask_b32_e32 v10, v9, v8, vcc
	v_cvt_f64_f32_e32 v[8:9], v13
	v_lshrrev_b32_e32 v11, 16, v11
	v_and_or_b32 v10, v11, s10, v10
	v_and_b32_e32 v0, 0xffff, v0
	v_lshl_or_b32 v0, v10, 16, v0
	v_mul_f64 v[9:10], v[8:9], s[14:15]
	global_load_dword v8, v37, s[6:7] offset:2240
	v_mov_b32_e32 v11, s2
	v_add_co_u32_e32 v2, vcc, s3, v2
	v_addc_co_u32_e32 v3, vcc, v3, v11, vcc
	global_store_dword v[2:3], v0, off
	v_and_or_b32 v0, v10, s18, v9
	v_cmp_ne_u32_e32 vcc, 0, v0
	v_cndmask_b32_e64 v0, 0, 1, vcc
	v_lshrrev_b32_e32 v9, 8, v10
	v_bfe_u32 v11, v10, 20, 11
	v_and_or_b32 v9, v9, s17, v0
	v_sub_u32_e32 v13, 0x3f1, v11
	v_or_b32_e32 v0, 0x1000, v9
	v_med3_i32 v13, v13, 0, 13
	v_lshrrev_b32_e32 v14, v13, v0
	v_mul_f16_sdwa v1, v1, v7 dst_sel:DWORD dst_unused:UNUSED_PAD src0_sel:DWORD src1_sel:WORD_1
	v_lshlrev_b32_e32 v13, v13, v14
	v_fma_f16 v1, v7, v12, -v1
	v_cmp_ne_u32_e32 vcc, v13, v0
	v_cvt_f32_f16_e32 v1, v1
	v_cndmask_b32_e64 v0, 0, 1, vcc
	v_add_u32_e32 v13, 0xfffffc10, v11
	v_or_b32_e32 v0, v14, v0
	v_lshl_or_b32 v11, v13, 12, v9
	v_cmp_gt_i32_e32 vcc, 1, v13
	v_cndmask_b32_e32 v0, v11, v0, vcc
	v_and_b32_e32 v11, 7, v0
	v_lshrrev_b32_e32 v7, 2, v0
	v_cvt_f64_f32_e32 v[0:1], v1
	v_cmp_lt_i32_e32 vcc, 5, v11
	v_cmp_eq_u32_e64 s[0:1], 3, v11
	s_or_b64 vcc, s[0:1], vcc
	v_mul_f64 v[11:12], v[0:1], s[14:15]
	v_addc_co_u32_e32 v7, vcc, 0, v7, vcc
	v_cmp_gt_i32_e32 vcc, 31, v13
	v_cndmask_b32_e32 v7, v4, v7, vcc
	v_cmp_ne_u32_e32 vcc, 0, v9
	v_cndmask_b32_e64 v0, 0, 1, vcc
	v_lshl_or_b32 v0, v0, 9, v4
	v_cmp_eq_u32_e32 vcc, s16, v13
	v_cndmask_b32_e32 v0, v7, v0, vcc
	v_lshrrev_b32_e32 v1, 16, v10
	v_and_or_b32 v7, v1, s10, v0
	v_and_or_b32 v0, v12, s18, v11
	v_cmp_ne_u32_e32 vcc, 0, v0
	v_cndmask_b32_e64 v0, 0, 1, vcc
	v_lshrrev_b32_e32 v1, 8, v12
	v_and_or_b32 v9, v1, s17, v0
	v_bfe_u32 v1, v12, 20, 11
	v_sub_u32_e32 v10, 0x3f1, v1
	v_or_b32_e32 v0, 0x1000, v9
	v_med3_i32 v10, v10, 0, 13
	v_lshrrev_b32_e32 v11, v10, v0
	v_lshlrev_b32_e32 v10, v10, v11
	v_cmp_ne_u32_e32 vcc, v10, v0
	v_cndmask_b32_e64 v0, 0, 1, vcc
	v_add_u32_e32 v10, 0xfffffc10, v1
	v_or_b32_e32 v0, v11, v0
	v_lshl_or_b32 v1, v10, 12, v9
	v_cmp_gt_i32_e32 vcc, 1, v10
	v_cndmask_b32_e32 v0, v1, v0, vcc
	v_and_b32_e32 v1, 7, v0
	v_cmp_lt_i32_e32 vcc, 5, v1
	v_cmp_eq_u32_e64 s[0:1], 3, v1
	v_lshrrev_b32_e32 v0, 2, v0
	s_or_b64 vcc, s[0:1], vcc
	v_addc_co_u32_e32 v11, vcc, 0, v0, vcc
	v_add_u32_e32 v0, 0x800, v37
	ds_read2_b32 v[0:1], v0 offset0:48 offset1:128
	global_load_dword v14, v37, s[6:7] offset:2560
	global_load_dword v15, v37, s[6:7] offset:2880
	;; [unrolled: 1-line block ×5, first 2 shown]
	v_cmp_gt_i32_e32 vcc, 31, v10
	v_cndmask_b32_e32 v11, v4, v11, vcc
	v_cmp_ne_u32_e32 vcc, 0, v9
	s_waitcnt lgkmcnt(0)
	v_lshrrev_b32_e32 v13, 16, v0
	v_cndmask_b32_e64 v9, 0, 1, vcc
	v_lshl_or_b32 v9, v9, 9, v4
	s_waitcnt vmcnt(6)
	v_mul_f16_sdwa v19, v13, v8 dst_sel:DWORD dst_unused:UNUSED_PAD src0_sel:DWORD src1_sel:WORD_1
	v_fma_f16 v19, v0, v8, v19
	v_cvt_f32_f16_e32 v19, v19
	v_cmp_eq_u32_e32 vcc, s16, v10
	v_cndmask_b32_e32 v11, v11, v9, vcc
	v_lshrrev_b32_e32 v12, 16, v12
	v_cvt_f64_f32_e32 v[9:10], v19
	v_and_or_b32 v11, v12, s10, v11
	v_and_b32_e32 v7, 0xffff, v7
	v_lshl_or_b32 v7, v11, 16, v7
	v_mul_f64 v[9:10], v[9:10], s[14:15]
	v_mov_b32_e32 v11, s2
	v_add_co_u32_e32 v2, vcc, s3, v2
	v_addc_co_u32_e32 v3, vcc, v3, v11, vcc
	global_store_dword v[2:3], v7, off
	v_mul_f16_sdwa v0, v0, v8 dst_sel:DWORD dst_unused:UNUSED_PAD src0_sel:DWORD src1_sel:WORD_1
	v_and_or_b32 v7, v10, s18, v9
	v_cmp_ne_u32_e32 vcc, 0, v7
	v_cndmask_b32_e64 v7, 0, 1, vcc
	v_lshrrev_b32_e32 v9, 8, v10
	v_bfe_u32 v11, v10, 20, 11
	v_and_or_b32 v9, v9, s17, v7
	v_sub_u32_e32 v12, 0x3f1, v11
	v_or_b32_e32 v7, 0x1000, v9
	v_med3_i32 v12, v12, 0, 13
	v_lshrrev_b32_e32 v19, v12, v7
	v_lshlrev_b32_e32 v12, v12, v19
	v_cmp_ne_u32_e32 vcc, v12, v7
	v_fma_f16 v0, v8, v13, -v0
	v_cndmask_b32_e64 v7, 0, 1, vcc
	v_add_u32_e32 v11, 0xfffffc10, v11
	v_cvt_f32_f16_e32 v0, v0
	v_or_b32_e32 v7, v19, v7
	v_lshl_or_b32 v12, v11, 12, v9
	v_cmp_gt_i32_e32 vcc, 1, v11
	v_cndmask_b32_e32 v7, v12, v7, vcc
	v_and_b32_e32 v12, 7, v7
	v_cmp_lt_i32_e32 vcc, 5, v12
	v_cmp_eq_u32_e64 s[0:1], 3, v12
	v_lshrrev_b32_e32 v12, 2, v7
	v_cvt_f64_f32_e32 v[7:8], v0
	s_or_b64 vcc, s[0:1], vcc
	v_addc_co_u32_e32 v0, vcc, 0, v12, vcc
	v_mul_f64 v[7:8], v[7:8], s[14:15]
	v_cmp_gt_i32_e32 vcc, 31, v11
	v_cndmask_b32_e32 v0, v4, v0, vcc
	v_cmp_ne_u32_e32 vcc, 0, v9
	v_cndmask_b32_e64 v9, 0, 1, vcc
	v_lshl_or_b32 v9, v9, 9, v4
	v_cmp_eq_u32_e32 vcc, s16, v11
	v_cndmask_b32_e32 v0, v0, v9, vcc
	v_and_or_b32 v7, v8, s18, v7
	v_lshrrev_b32_e32 v9, 16, v10
	v_cmp_ne_u32_e32 vcc, 0, v7
	v_and_or_b32 v0, v9, s10, v0
	v_cndmask_b32_e64 v7, 0, 1, vcc
	v_lshrrev_b32_e32 v9, 8, v8
	v_bfe_u32 v10, v8, 20, 11
	v_and_or_b32 v7, v9, s17, v7
	v_sub_u32_e32 v11, 0x3f1, v10
	v_or_b32_e32 v9, 0x1000, v7
	v_med3_i32 v11, v11, 0, 13
	v_lshrrev_b32_e32 v12, v11, v9
	v_lshlrev_b32_e32 v11, v11, v12
	v_cmp_ne_u32_e32 vcc, v11, v9
	v_cndmask_b32_e64 v9, 0, 1, vcc
	v_add_u32_e32 v10, 0xfffffc10, v10
	v_or_b32_e32 v9, v12, v9
	v_lshl_or_b32 v11, v10, 12, v7
	v_cmp_gt_i32_e32 vcc, 1, v10
	v_cndmask_b32_e32 v9, v11, v9, vcc
	v_and_b32_e32 v11, 7, v9
	v_cmp_lt_i32_e32 vcc, 5, v11
	v_cmp_eq_u32_e64 s[0:1], 3, v11
	v_lshrrev_b32_e32 v11, 16, v1
	v_lshrrev_b32_e32 v9, 2, v9
	s_or_b64 vcc, s[0:1], vcc
	s_waitcnt vmcnt(5)
	v_mul_f16_sdwa v12, v11, v14 dst_sel:DWORD dst_unused:UNUSED_PAD src0_sel:DWORD src1_sel:WORD_1
	v_addc_co_u32_e32 v9, vcc, 0, v9, vcc
	v_fma_f16 v12, v1, v14, v12
	v_cmp_gt_i32_e32 vcc, 31, v10
	v_cvt_f32_f16_e32 v12, v12
	v_cndmask_b32_e32 v9, v4, v9, vcc
	v_cmp_ne_u32_e32 vcc, 0, v7
	v_cndmask_b32_e64 v7, 0, 1, vcc
	v_lshl_or_b32 v7, v7, 9, v4
	v_cmp_eq_u32_e32 vcc, s16, v10
	v_cndmask_b32_e32 v9, v9, v7, vcc
	v_lshrrev_b32_e32 v10, 16, v8
	v_cvt_f64_f32_e32 v[7:8], v12
	v_and_or_b32 v9, v10, s10, v9
	v_and_b32_e32 v0, 0xffff, v0
	v_lshl_or_b32 v0, v9, 16, v0
	v_mul_f64 v[7:8], v[7:8], s[14:15]
	v_mov_b32_e32 v9, s2
	v_add_co_u32_e32 v2, vcc, s3, v2
	v_addc_co_u32_e32 v3, vcc, v3, v9, vcc
	global_store_dword v[2:3], v0, off
	v_mul_f16_sdwa v1, v1, v14 dst_sel:DWORD dst_unused:UNUSED_PAD src0_sel:DWORD src1_sel:WORD_1
	v_and_or_b32 v0, v8, s18, v7
	v_cmp_ne_u32_e32 vcc, 0, v0
	v_cndmask_b32_e64 v0, 0, 1, vcc
	v_lshrrev_b32_e32 v7, 8, v8
	v_bfe_u32 v9, v8, 20, 11
	v_and_or_b32 v7, v7, s17, v0
	v_sub_u32_e32 v10, 0x3f1, v9
	v_or_b32_e32 v0, 0x1000, v7
	v_med3_i32 v10, v10, 0, 13
	v_lshrrev_b32_e32 v13, v10, v0
	v_lshlrev_b32_e32 v10, v10, v13
	v_cmp_ne_u32_e32 vcc, v10, v0
	v_fma_f16 v1, v14, v11, -v1
	v_cndmask_b32_e64 v0, 0, 1, vcc
	v_add_u32_e32 v9, 0xfffffc10, v9
	v_cvt_f32_f16_e32 v1, v1
	v_or_b32_e32 v0, v13, v0
	v_lshl_or_b32 v10, v9, 12, v7
	v_cmp_gt_i32_e32 vcc, 1, v9
	v_cndmask_b32_e32 v0, v10, v0, vcc
	v_and_b32_e32 v10, 7, v0
	v_cmp_lt_i32_e32 vcc, 5, v10
	v_cmp_eq_u32_e64 s[0:1], 3, v10
	v_lshrrev_b32_e32 v10, 2, v0
	v_cvt_f64_f32_e32 v[0:1], v1
	s_or_b64 vcc, s[0:1], vcc
	v_addc_co_u32_e32 v10, vcc, 0, v10, vcc
	v_mul_f64 v[0:1], v[0:1], s[14:15]
	v_cmp_gt_i32_e32 vcc, 31, v9
	v_cndmask_b32_e32 v10, v4, v10, vcc
	v_cmp_ne_u32_e32 vcc, 0, v7
	v_cndmask_b32_e64 v7, 0, 1, vcc
	v_lshl_or_b32 v7, v7, 9, v4
	v_cmp_eq_u32_e32 vcc, s16, v9
	v_cndmask_b32_e32 v7, v10, v7, vcc
	v_and_or_b32 v0, v1, s18, v0
	v_lshrrev_b32_e32 v8, 16, v8
	v_cmp_ne_u32_e32 vcc, 0, v0
	v_and_or_b32 v13, v8, s10, v7
	v_cndmask_b32_e64 v0, 0, 1, vcc
	v_lshrrev_b32_e32 v7, 8, v1
	v_bfe_u32 v8, v1, 20, 11
	v_and_or_b32 v0, v7, s17, v0
	v_sub_u32_e32 v9, 0x3f1, v8
	v_or_b32_e32 v7, 0x1000, v0
	v_med3_i32 v9, v9, 0, 13
	v_lshrrev_b32_e32 v10, v9, v7
	v_lshlrev_b32_e32 v9, v9, v10
	v_cmp_ne_u32_e32 vcc, v9, v7
	v_cndmask_b32_e64 v7, 0, 1, vcc
	v_add_u32_e32 v11, 0xfffffc10, v8
	v_or_b32_e32 v7, v10, v7
	v_lshl_or_b32 v8, v11, 12, v0
	v_cmp_gt_i32_e32 vcc, 1, v11
	v_cndmask_b32_e32 v7, v8, v7, vcc
	v_and_b32_e32 v8, 7, v7
	v_cmp_lt_i32_e32 vcc, 5, v8
	v_cmp_eq_u32_e64 s[0:1], 3, v8
	v_lshrrev_b32_e32 v7, 2, v7
	s_or_b64 vcc, s[0:1], vcc
	v_add_u32_e32 v9, 0xa00, v37
	v_addc_co_u32_e32 v7, vcc, 0, v7, vcc
	ds_read2_b32 v[9:10], v9 offset0:80 offset1:160
	v_or_b32_e32 v12, 0x280, v38
	v_cmp_gt_i32_e32 vcc, 31, v11
	v_cndmask_b32_e32 v14, v4, v7, vcc
	v_mad_u64_u32 v[7:8], s[0:1], s8, v12, 0
	v_cmp_ne_u32_e32 vcc, 0, v0
	v_cndmask_b32_e64 v0, 0, 1, vcc
	v_lshl_or_b32 v0, v0, 9, v4
	v_cmp_eq_u32_e32 vcc, s16, v11
	s_waitcnt lgkmcnt(0)
	v_lshrrev_b32_e32 v19, 16, v9
	v_cndmask_b32_e32 v14, v14, v0, vcc
	v_mov_b32_e32 v0, v8
	s_waitcnt vmcnt(5)
	v_mul_f16_sdwa v8, v19, v15 dst_sel:DWORD dst_unused:UNUSED_PAD src0_sel:DWORD src1_sel:WORD_1
	v_fma_f16 v8, v9, v15, v8
	v_cvt_f32_f16_e32 v8, v8
	v_mad_u64_u32 v[11:12], s[0:1], s9, v12, v[0:1]
	v_lshrrev_b32_e32 v12, 16, v1
	v_cvt_f64_f32_e32 v[0:1], v8
	v_mov_b32_e32 v8, v11
	v_lshlrev_b64 v[7:8], 2, v[7:8]
	v_and_or_b32 v12, v12, s10, v14
	v_mul_f64 v[0:1], v[0:1], s[14:15]
	v_add_co_u32_e32 v5, vcc, v5, v7
	v_and_b32_e32 v11, 0xffff, v13
	v_addc_co_u32_e32 v6, vcc, v6, v8, vcc
	v_lshl_or_b32 v11, v12, 16, v11
	global_store_dword v[5:6], v11, off
	v_and_or_b32 v0, v1, s18, v0
	v_cmp_ne_u32_e32 vcc, 0, v0
	v_cndmask_b32_e64 v0, 0, 1, vcc
	v_lshrrev_b32_e32 v5, 8, v1
	v_bfe_u32 v6, v1, 20, 11
	v_and_or_b32 v0, v5, s17, v0
	v_sub_u32_e32 v7, 0x3f1, v6
	v_or_b32_e32 v5, 0x1000, v0
	v_med3_i32 v7, v7, 0, 13
	v_lshrrev_b32_e32 v8, v7, v5
	v_lshlrev_b32_e32 v7, v7, v8
	v_cmp_ne_u32_e32 vcc, v7, v5
	v_cndmask_b32_e64 v5, 0, 1, vcc
	v_or_b32_e32 v5, v8, v5
	v_mul_f16_sdwa v8, v9, v15 dst_sel:DWORD dst_unused:UNUSED_PAD src0_sel:DWORD src1_sel:WORD_1
	v_fma_f16 v8, v15, v19, -v8
	v_add_u32_e32 v7, 0xfffffc10, v6
	v_cvt_f32_f16_e32 v8, v8
	v_lshl_or_b32 v6, v7, 12, v0
	v_cmp_gt_i32_e32 vcc, 1, v7
	v_cndmask_b32_e32 v5, v6, v5, vcc
	v_and_b32_e32 v6, 7, v5
	v_cmp_lt_i32_e32 vcc, 5, v6
	v_cmp_eq_u32_e64 s[0:1], 3, v6
	v_lshrrev_b32_e32 v9, 2, v5
	v_cvt_f64_f32_e32 v[5:6], v8
	s_or_b64 vcc, s[0:1], vcc
	v_addc_co_u32_e32 v8, vcc, 0, v9, vcc
	v_mul_f64 v[5:6], v[5:6], s[14:15]
	v_cmp_gt_i32_e32 vcc, 31, v7
	v_cndmask_b32_e32 v8, v4, v8, vcc
	v_cmp_ne_u32_e32 vcc, 0, v0
	v_cndmask_b32_e64 v0, 0, 1, vcc
	v_lshl_or_b32 v0, v0, 9, v4
	v_cmp_eq_u32_e32 vcc, s16, v7
	v_cndmask_b32_e32 v0, v8, v0, vcc
	v_lshrrev_b32_e32 v1, 16, v1
	v_and_or_b32 v7, v1, s10, v0
	v_and_or_b32 v0, v6, s18, v5
	v_cmp_ne_u32_e32 vcc, 0, v0
	v_cndmask_b32_e64 v0, 0, 1, vcc
	v_lshrrev_b32_e32 v1, 8, v6
	v_bfe_u32 v5, v6, 20, 11
	v_and_or_b32 v0, v1, s17, v0
	v_sub_u32_e32 v8, 0x3f1, v5
	v_or_b32_e32 v1, 0x1000, v0
	v_med3_i32 v8, v8, 0, 13
	v_lshrrev_b32_e32 v9, v8, v1
	v_lshlrev_b32_e32 v8, v8, v9
	v_cmp_ne_u32_e32 vcc, v8, v1
	v_cndmask_b32_e64 v1, 0, 1, vcc
	v_add_u32_e32 v5, 0xfffffc10, v5
	v_or_b32_e32 v1, v9, v1
	v_lshl_or_b32 v8, v5, 12, v0
	v_cmp_gt_i32_e32 vcc, 1, v5
	v_cndmask_b32_e32 v1, v8, v1, vcc
	v_and_b32_e32 v8, 7, v1
	v_cmp_lt_i32_e32 vcc, 5, v8
	v_cmp_eq_u32_e64 s[0:1], 3, v8
	v_lshrrev_b32_e32 v8, 16, v10
	v_lshrrev_b32_e32 v1, 2, v1
	s_or_b64 vcc, s[0:1], vcc
	s_waitcnt vmcnt(5)
	v_mul_f16_sdwa v9, v8, v16 dst_sel:DWORD dst_unused:UNUSED_PAD src0_sel:DWORD src1_sel:WORD_1
	v_addc_co_u32_e32 v1, vcc, 0, v1, vcc
	v_fma_f16 v9, v10, v16, v9
	v_cmp_gt_i32_e32 vcc, 31, v5
	v_cvt_f32_f16_e32 v9, v9
	v_cndmask_b32_e32 v1, v4, v1, vcc
	v_cmp_ne_u32_e32 vcc, 0, v0
	v_cndmask_b32_e64 v0, 0, 1, vcc
	v_lshl_or_b32 v0, v0, 9, v4
	v_cmp_eq_u32_e32 vcc, s16, v5
	v_cndmask_b32_e32 v5, v1, v0, vcc
	v_cvt_f64_f32_e32 v[0:1], v9
	v_lshrrev_b32_e32 v6, 16, v6
	v_and_or_b32 v5, v6, s10, v5
	v_mov_b32_e32 v6, 0x280
	v_mul_f64 v[0:1], v[0:1], s[14:15]
	v_mad_u64_u32 v[2:3], s[0:1], s8, v6, v[2:3]
	v_and_b32_e32 v6, 0xffff, v7
	s_mul_i32 s0, s9, 0x280
	v_lshl_or_b32 v5, v5, 16, v6
	v_add_u32_e32 v3, s0, v3
	global_store_dword v[2:3], v5, off
	v_and_or_b32 v0, v1, s18, v0
	v_cmp_ne_u32_e32 vcc, 0, v0
	v_cndmask_b32_e64 v0, 0, 1, vcc
	v_lshrrev_b32_e32 v5, 8, v1
	v_bfe_u32 v6, v1, 20, 11
	v_and_or_b32 v0, v5, s17, v0
	v_sub_u32_e32 v7, 0x3f1, v6
	v_or_b32_e32 v5, 0x1000, v0
	v_med3_i32 v7, v7, 0, 13
	v_lshrrev_b32_e32 v9, v7, v5
	v_lshlrev_b32_e32 v7, v7, v9
	v_cmp_ne_u32_e32 vcc, v7, v5
	v_cndmask_b32_e64 v5, 0, 1, vcc
	v_or_b32_e32 v5, v9, v5
	v_mul_f16_sdwa v9, v10, v16 dst_sel:DWORD dst_unused:UNUSED_PAD src0_sel:DWORD src1_sel:WORD_1
	v_fma_f16 v8, v16, v8, -v9
	v_add_u32_e32 v7, 0xfffffc10, v6
	v_cvt_f32_f16_e32 v8, v8
	v_lshl_or_b32 v6, v7, 12, v0
	v_cmp_gt_i32_e32 vcc, 1, v7
	v_cndmask_b32_e32 v5, v6, v5, vcc
	v_and_b32_e32 v6, 7, v5
	v_cmp_lt_i32_e32 vcc, 5, v6
	v_cmp_eq_u32_e64 s[0:1], 3, v6
	v_lshrrev_b32_e32 v9, 2, v5
	v_cvt_f64_f32_e32 v[5:6], v8
	s_or_b64 vcc, s[0:1], vcc
	v_addc_co_u32_e32 v8, vcc, 0, v9, vcc
	v_mul_f64 v[5:6], v[5:6], s[14:15]
	v_cmp_gt_i32_e32 vcc, 31, v7
	v_cndmask_b32_e32 v8, v4, v8, vcc
	v_cmp_ne_u32_e32 vcc, 0, v0
	v_cndmask_b32_e64 v0, 0, 1, vcc
	v_lshl_or_b32 v0, v0, 9, v4
	v_cmp_eq_u32_e32 vcc, s16, v7
	v_cndmask_b32_e32 v0, v8, v0, vcc
	v_lshrrev_b32_e32 v1, 16, v1
	v_and_or_b32 v9, v1, s10, v0
	v_and_or_b32 v0, v6, s18, v5
	v_cmp_ne_u32_e32 vcc, 0, v0
	v_cndmask_b32_e64 v0, 0, 1, vcc
	v_lshrrev_b32_e32 v1, 8, v6
	v_and_or_b32 v5, v1, s17, v0
	v_bfe_u32 v1, v6, 20, 11
	v_sub_u32_e32 v7, 0x3f1, v1
	v_or_b32_e32 v0, 0x1000, v5
	v_med3_i32 v7, v7, 0, 13
	v_lshrrev_b32_e32 v8, v7, v0
	v_lshlrev_b32_e32 v7, v7, v8
	v_cmp_ne_u32_e32 vcc, v7, v0
	v_cndmask_b32_e64 v0, 0, 1, vcc
	v_add_u32_e32 v7, 0xfffffc10, v1
	v_or_b32_e32 v0, v8, v0
	v_lshl_or_b32 v1, v7, 12, v5
	v_cmp_gt_i32_e32 vcc, 1, v7
	v_cndmask_b32_e32 v0, v1, v0, vcc
	v_and_b32_e32 v1, 7, v0
	v_cmp_lt_i32_e32 vcc, 5, v1
	v_cmp_eq_u32_e64 s[0:1], 3, v1
	v_lshrrev_b32_e32 v0, 2, v0
	s_or_b64 vcc, s[0:1], vcc
	v_addc_co_u32_e32 v8, vcc, 0, v0, vcc
	v_add_u32_e32 v0, 0xc00, v37
	ds_read2_b32 v[0:1], v0 offset0:112 offset1:192
	v_cmp_gt_i32_e32 vcc, 31, v7
	v_cndmask_b32_e32 v8, v4, v8, vcc
	v_cmp_ne_u32_e32 vcc, 0, v5
	v_cndmask_b32_e64 v5, 0, 1, vcc
	s_waitcnt lgkmcnt(0)
	v_lshrrev_b32_e32 v10, 16, v0
	s_waitcnt vmcnt(5)
	v_mul_f16_sdwa v11, v10, v17 dst_sel:DWORD dst_unused:UNUSED_PAD src0_sel:DWORD src1_sel:WORD_1
	v_fma_f16 v11, v0, v17, v11
	v_cvt_f32_f16_e32 v11, v11
	v_lshl_or_b32 v5, v5, 9, v4
	v_cmp_eq_u32_e32 vcc, s16, v7
	v_cndmask_b32_e32 v5, v8, v5, vcc
	v_cvt_f64_f32_e32 v[7:8], v11
	v_lshrrev_b32_e32 v6, 16, v6
	v_and_or_b32 v11, v6, s10, v5
	v_add_co_u32_e32 v2, vcc, s3, v2
	v_mul_f64 v[5:6], v[7:8], s[14:15]
	v_mov_b32_e32 v8, s2
	v_and_b32_e32 v9, 0xffff, v9
	v_addc_co_u32_e32 v3, vcc, v3, v8, vcc
	v_lshl_or_b32 v7, v11, 16, v9
	global_store_dword v[2:3], v7, off
	v_mul_f16_sdwa v0, v0, v17 dst_sel:DWORD dst_unused:UNUSED_PAD src0_sel:DWORD src1_sel:WORD_1
	v_and_or_b32 v5, v6, s18, v5
	v_cmp_ne_u32_e32 vcc, 0, v5
	v_cndmask_b32_e64 v5, 0, 1, vcc
	v_lshrrev_b32_e32 v7, 8, v6
	v_bfe_u32 v8, v6, 20, 11
	v_and_or_b32 v5, v7, s17, v5
	v_sub_u32_e32 v9, 0x3f1, v8
	v_or_b32_e32 v7, 0x1000, v5
	v_med3_i32 v9, v9, 0, 13
	v_lshrrev_b32_e32 v11, v9, v7
	v_lshlrev_b32_e32 v9, v9, v11
	v_cmp_ne_u32_e32 vcc, v9, v7
	v_fma_f16 v0, v17, v10, -v0
	v_cndmask_b32_e64 v7, 0, 1, vcc
	v_add_u32_e32 v9, 0xfffffc10, v8
	v_cvt_f32_f16_e32 v0, v0
	v_or_b32_e32 v7, v11, v7
	v_lshl_or_b32 v8, v9, 12, v5
	v_cmp_gt_i32_e32 vcc, 1, v9
	v_cndmask_b32_e32 v7, v8, v7, vcc
	v_and_b32_e32 v8, 7, v7
	v_cmp_lt_i32_e32 vcc, 5, v8
	v_cmp_eq_u32_e64 s[0:1], 3, v8
	v_lshrrev_b32_e32 v10, 2, v7
	v_cvt_f64_f32_e32 v[7:8], v0
	s_or_b64 vcc, s[0:1], vcc
	v_addc_co_u32_e32 v0, vcc, 0, v10, vcc
	v_mul_f64 v[7:8], v[7:8], s[14:15]
	v_cmp_gt_i32_e32 vcc, 31, v9
	v_cndmask_b32_e32 v0, v4, v0, vcc
	v_cmp_ne_u32_e32 vcc, 0, v5
	v_cndmask_b32_e64 v5, 0, 1, vcc
	v_lshl_or_b32 v5, v5, 9, v4
	v_cmp_eq_u32_e32 vcc, s16, v9
	v_cndmask_b32_e32 v0, v0, v5, vcc
	v_lshrrev_b32_e32 v5, 16, v6
	v_and_or_b32 v0, v5, s10, v0
	v_and_or_b32 v5, v8, s18, v7
	v_cmp_ne_u32_e32 vcc, 0, v5
	v_cndmask_b32_e64 v5, 0, 1, vcc
	v_lshrrev_b32_e32 v6, 8, v8
	v_bfe_u32 v7, v8, 20, 11
	v_and_or_b32 v5, v6, s17, v5
	v_sub_u32_e32 v9, 0x3f1, v7
	v_or_b32_e32 v6, 0x1000, v5
	v_med3_i32 v9, v9, 0, 13
	v_lshrrev_b32_e32 v10, v9, v6
	v_lshlrev_b32_e32 v9, v9, v10
	v_cmp_ne_u32_e32 vcc, v9, v6
	v_cndmask_b32_e64 v6, 0, 1, vcc
	v_add_u32_e32 v7, 0xfffffc10, v7
	v_or_b32_e32 v6, v10, v6
	v_lshl_or_b32 v9, v7, 12, v5
	v_cmp_gt_i32_e32 vcc, 1, v7
	v_cndmask_b32_e32 v6, v9, v6, vcc
	v_and_b32_e32 v9, 7, v6
	v_cmp_lt_i32_e32 vcc, 5, v9
	v_cmp_eq_u32_e64 s[0:1], 3, v9
	v_lshrrev_b32_e32 v9, 16, v1
	v_lshrrev_b32_e32 v6, 2, v6
	s_or_b64 vcc, s[0:1], vcc
	s_waitcnt vmcnt(5)
	v_mul_f16_sdwa v10, v9, v18 dst_sel:DWORD dst_unused:UNUSED_PAD src0_sel:DWORD src1_sel:WORD_1
	v_addc_co_u32_e32 v6, vcc, 0, v6, vcc
	v_fma_f16 v10, v1, v18, v10
	v_cmp_gt_i32_e32 vcc, 31, v7
	v_cvt_f32_f16_e32 v10, v10
	v_cndmask_b32_e32 v6, v4, v6, vcc
	v_cmp_ne_u32_e32 vcc, 0, v5
	v_cndmask_b32_e64 v5, 0, 1, vcc
	v_lshl_or_b32 v5, v5, 9, v4
	v_cmp_eq_u32_e32 vcc, s16, v7
	v_cndmask_b32_e32 v7, v6, v5, vcc
	v_cvt_f64_f32_e32 v[5:6], v10
	v_lshrrev_b32_e32 v8, 16, v8
	v_and_or_b32 v7, v8, s10, v7
	v_and_b32_e32 v0, 0xffff, v0
	v_mul_f64 v[5:6], v[5:6], s[14:15]
	v_lshl_or_b32 v0, v7, 16, v0
	v_mov_b32_e32 v7, s2
	v_add_co_u32_e32 v2, vcc, s3, v2
	v_addc_co_u32_e32 v3, vcc, v3, v7, vcc
	global_store_dword v[2:3], v0, off
	v_and_or_b32 v0, v6, s18, v5
	v_cmp_ne_u32_e32 vcc, 0, v0
	v_cndmask_b32_e64 v0, 0, 1, vcc
	v_lshrrev_b32_e32 v5, 8, v6
	v_bfe_u32 v7, v6, 20, 11
	v_and_or_b32 v5, v5, s17, v0
	v_sub_u32_e32 v8, 0x3f1, v7
	v_or_b32_e32 v0, 0x1000, v5
	v_med3_i32 v8, v8, 0, 13
	v_lshrrev_b32_e32 v10, v8, v0
	v_lshlrev_b32_e32 v8, v8, v10
	v_mul_f16_sdwa v1, v1, v18 dst_sel:DWORD dst_unused:UNUSED_PAD src0_sel:DWORD src1_sel:WORD_1
	v_cmp_ne_u32_e32 vcc, v8, v0
	v_fma_f16 v1, v18, v9, -v1
	v_cndmask_b32_e64 v0, 0, 1, vcc
	v_add_u32_e32 v7, 0xfffffc10, v7
	v_cvt_f32_f16_e32 v1, v1
	v_or_b32_e32 v0, v10, v0
	v_lshl_or_b32 v8, v7, 12, v5
	v_cmp_gt_i32_e32 vcc, 1, v7
	v_cndmask_b32_e32 v0, v8, v0, vcc
	v_and_b32_e32 v8, 7, v0
	v_cmp_lt_i32_e32 vcc, 5, v8
	v_cmp_eq_u32_e64 s[0:1], 3, v8
	v_lshrrev_b32_e32 v8, 2, v0
	v_cvt_f64_f32_e32 v[0:1], v1
	s_or_b64 vcc, s[0:1], vcc
	v_addc_co_u32_e32 v8, vcc, 0, v8, vcc
	v_mul_f64 v[0:1], v[0:1], s[14:15]
	v_cmp_gt_i32_e32 vcc, 31, v7
	v_cndmask_b32_e32 v8, v4, v8, vcc
	v_cmp_ne_u32_e32 vcc, 0, v5
	v_cndmask_b32_e64 v5, 0, 1, vcc
	v_lshl_or_b32 v5, v5, 9, v4
	v_cmp_eq_u32_e32 vcc, s16, v7
	v_cndmask_b32_e32 v5, v8, v5, vcc
	v_and_or_b32 v0, v1, s18, v0
	v_lshrrev_b32_e32 v6, 16, v6
	v_cmp_ne_u32_e32 vcc, 0, v0
	v_and_or_b32 v5, v6, s10, v5
	v_cndmask_b32_e64 v0, 0, 1, vcc
	v_lshrrev_b32_e32 v6, 8, v1
	v_bfe_u32 v7, v1, 20, 11
	v_and_or_b32 v0, v6, s17, v0
	v_sub_u32_e32 v8, 0x3f1, v7
	v_or_b32_e32 v6, 0x1000, v0
	v_med3_i32 v8, v8, 0, 13
	v_lshrrev_b32_e32 v9, v8, v6
	v_lshlrev_b32_e32 v8, v8, v9
	v_cmp_ne_u32_e32 vcc, v8, v6
	v_cndmask_b32_e64 v6, 0, 1, vcc
	v_add_u32_e32 v7, 0xfffffc10, v7
	v_or_b32_e32 v6, v9, v6
	v_lshl_or_b32 v8, v7, 12, v0
	v_cmp_gt_i32_e32 vcc, 1, v7
	v_cndmask_b32_e32 v6, v8, v6, vcc
	v_and_b32_e32 v8, 7, v6
	v_cmp_lt_i32_e32 vcc, 5, v8
	v_cmp_eq_u32_e64 s[0:1], 3, v8
	v_lshrrev_b32_e32 v6, 2, v6
	s_or_b64 vcc, s[0:1], vcc
	v_addc_co_u32_e32 v6, vcc, 0, v6, vcc
	v_cmp_gt_i32_e32 vcc, 31, v7
	v_cndmask_b32_e32 v6, v4, v6, vcc
	v_cmp_ne_u32_e32 vcc, 0, v0
	v_cndmask_b32_e64 v0, 0, 1, vcc
	v_lshl_or_b32 v0, v0, 9, v4
	v_cmp_eq_u32_e32 vcc, s16, v7
	v_cndmask_b32_e32 v0, v6, v0, vcc
	v_lshrrev_b32_e32 v1, 16, v1
	v_and_or_b32 v0, v1, s10, v0
	v_and_b32_e32 v1, 0xffff, v5
	v_lshl_or_b32 v4, v0, 16, v1
	v_mov_b32_e32 v1, s2
	v_add_co_u32_e32 v0, vcc, s3, v2
	v_addc_co_u32_e32 v1, vcc, v3, v1, vcc
	global_store_dword v[0:1], v4, off
.LBB0_23:
	s_endpgm
	.section	.rodata,"a",@progbits
	.p2align	6, 0x0
	.amdhsa_kernel bluestein_single_back_len1040_dim1_half_op_CI_CI
		.amdhsa_group_segment_fixed_size 4160
		.amdhsa_private_segment_fixed_size 0
		.amdhsa_kernarg_size 104
		.amdhsa_user_sgpr_count 6
		.amdhsa_user_sgpr_private_segment_buffer 1
		.amdhsa_user_sgpr_dispatch_ptr 0
		.amdhsa_user_sgpr_queue_ptr 0
		.amdhsa_user_sgpr_kernarg_segment_ptr 1
		.amdhsa_user_sgpr_dispatch_id 0
		.amdhsa_user_sgpr_flat_scratch_init 0
		.amdhsa_user_sgpr_private_segment_size 0
		.amdhsa_uses_dynamic_stack 0
		.amdhsa_system_sgpr_private_segment_wavefront_offset 0
		.amdhsa_system_sgpr_workgroup_id_x 1
		.amdhsa_system_sgpr_workgroup_id_y 0
		.amdhsa_system_sgpr_workgroup_id_z 0
		.amdhsa_system_sgpr_workgroup_info 0
		.amdhsa_system_vgpr_workitem_id 0
		.amdhsa_next_free_vgpr 101
		.amdhsa_next_free_sgpr 30
		.amdhsa_reserve_vcc 1
		.amdhsa_reserve_flat_scratch 0
		.amdhsa_float_round_mode_32 0
		.amdhsa_float_round_mode_16_64 0
		.amdhsa_float_denorm_mode_32 3
		.amdhsa_float_denorm_mode_16_64 3
		.amdhsa_dx10_clamp 1
		.amdhsa_ieee_mode 1
		.amdhsa_fp16_overflow 0
		.amdhsa_exception_fp_ieee_invalid_op 0
		.amdhsa_exception_fp_denorm_src 0
		.amdhsa_exception_fp_ieee_div_zero 0
		.amdhsa_exception_fp_ieee_overflow 0
		.amdhsa_exception_fp_ieee_underflow 0
		.amdhsa_exception_fp_ieee_inexact 0
		.amdhsa_exception_int_div_zero 0
	.end_amdhsa_kernel
	.text
.Lfunc_end0:
	.size	bluestein_single_back_len1040_dim1_half_op_CI_CI, .Lfunc_end0-bluestein_single_back_len1040_dim1_half_op_CI_CI
                                        ; -- End function
	.section	.AMDGPU.csdata,"",@progbits
; Kernel info:
; codeLenInByte = 20352
; NumSgprs: 34
; NumVgprs: 101
; ScratchSize: 0
; MemoryBound: 0
; FloatMode: 240
; IeeeMode: 1
; LDSByteSize: 4160 bytes/workgroup (compile time only)
; SGPRBlocks: 4
; VGPRBlocks: 25
; NumSGPRsForWavesPerEU: 34
; NumVGPRsForWavesPerEU: 101
; Occupancy: 2
; WaveLimiterHint : 1
; COMPUTE_PGM_RSRC2:SCRATCH_EN: 0
; COMPUTE_PGM_RSRC2:USER_SGPR: 6
; COMPUTE_PGM_RSRC2:TRAP_HANDLER: 0
; COMPUTE_PGM_RSRC2:TGID_X_EN: 1
; COMPUTE_PGM_RSRC2:TGID_Y_EN: 0
; COMPUTE_PGM_RSRC2:TGID_Z_EN: 0
; COMPUTE_PGM_RSRC2:TIDIG_COMP_CNT: 0
	.type	__hip_cuid_a757983c4407356d,@object ; @__hip_cuid_a757983c4407356d
	.section	.bss,"aw",@nobits
	.globl	__hip_cuid_a757983c4407356d
__hip_cuid_a757983c4407356d:
	.byte	0                               ; 0x0
	.size	__hip_cuid_a757983c4407356d, 1

	.ident	"AMD clang version 19.0.0git (https://github.com/RadeonOpenCompute/llvm-project roc-6.4.0 25133 c7fe45cf4b819c5991fe208aaa96edf142730f1d)"
	.section	".note.GNU-stack","",@progbits
	.addrsig
	.addrsig_sym __hip_cuid_a757983c4407356d
	.amdgpu_metadata
---
amdhsa.kernels:
  - .args:
      - .actual_access:  read_only
        .address_space:  global
        .offset:         0
        .size:           8
        .value_kind:     global_buffer
      - .actual_access:  read_only
        .address_space:  global
        .offset:         8
        .size:           8
        .value_kind:     global_buffer
      - .actual_access:  read_only
        .address_space:  global
        .offset:         16
        .size:           8
        .value_kind:     global_buffer
      - .actual_access:  read_only
        .address_space:  global
        .offset:         24
        .size:           8
        .value_kind:     global_buffer
      - .actual_access:  read_only
        .address_space:  global
        .offset:         32
        .size:           8
        .value_kind:     global_buffer
      - .offset:         40
        .size:           8
        .value_kind:     by_value
      - .address_space:  global
        .offset:         48
        .size:           8
        .value_kind:     global_buffer
      - .address_space:  global
        .offset:         56
        .size:           8
        .value_kind:     global_buffer
      - .address_space:  global
        .offset:         64
        .size:           8
        .value_kind:     global_buffer
      - .address_space:  global
        .offset:         72
        .size:           8
        .value_kind:     global_buffer
      - .offset:         80
        .size:           4
        .value_kind:     by_value
      - .address_space:  global
        .offset:         88
        .size:           8
        .value_kind:     global_buffer
      - .address_space:  global
        .offset:         96
        .size:           8
        .value_kind:     global_buffer
    .group_segment_fixed_size: 4160
    .kernarg_segment_align: 8
    .kernarg_segment_size: 104
    .language:       OpenCL C
    .language_version:
      - 2
      - 0
    .max_flat_workgroup_size: 208
    .name:           bluestein_single_back_len1040_dim1_half_op_CI_CI
    .private_segment_fixed_size: 0
    .sgpr_count:     34
    .sgpr_spill_count: 0
    .symbol:         bluestein_single_back_len1040_dim1_half_op_CI_CI.kd
    .uniform_work_group_size: 1
    .uses_dynamic_stack: false
    .vgpr_count:     101
    .vgpr_spill_count: 0
    .wavefront_size: 64
amdhsa.target:   amdgcn-amd-amdhsa--gfx906
amdhsa.version:
  - 1
  - 2
...

	.end_amdgpu_metadata
